;; amdgpu-corpus repo=ROCm/rocFFT kind=compiled arch=gfx906 opt=O3
	.text
	.amdgcn_target "amdgcn-amd-amdhsa--gfx906"
	.amdhsa_code_object_version 6
	.protected	bluestein_single_fwd_len1911_dim1_dp_op_CI_CI ; -- Begin function bluestein_single_fwd_len1911_dim1_dp_op_CI_CI
	.globl	bluestein_single_fwd_len1911_dim1_dp_op_CI_CI
	.p2align	8
	.type	bluestein_single_fwd_len1911_dim1_dp_op_CI_CI,@function
bluestein_single_fwd_len1911_dim1_dp_op_CI_CI: ; @bluestein_single_fwd_len1911_dim1_dp_op_CI_CI
; %bb.0:
	s_load_dwordx4 s[8:11], s[4:5], 0x28
	s_mov_b64 s[54:55], s[2:3]
	v_mul_u32_u24_e32 v1, 0x2d1, v0
	s_mov_b64 s[52:53], s[0:1]
	v_add_u32_sdwa v4, s6, v1 dst_sel:DWORD dst_unused:UNUSED_PAD src0_sel:DWORD src1_sel:WORD_1
	v_mov_b32_e32 v5, 0
	s_add_u32 s52, s52, s7
	s_waitcnt lgkmcnt(0)
	v_cmp_gt_u64_e32 vcc, s[8:9], v[4:5]
	s_addc_u32 s53, s53, 0
	s_and_saveexec_b64 s[0:1], vcc
	s_cbranch_execz .LBB0_15
; %bb.1:
	s_load_dwordx4 s[0:3], s[4:5], 0x18
	v_mov_b32_e32 v5, v4
	s_waitcnt lgkmcnt(0)
	s_load_dwordx4 s[12:15], s[0:1], 0x0
	s_movk_i32 s0, 0x5b
	v_mul_lo_u16_sdwa v1, v1, s0 dst_sel:DWORD dst_unused:UNUSED_PAD src0_sel:WORD_1 src1_sel:DWORD
	v_sub_u16_e32 v82, v0, v1
	buffer_store_dword v5, off, s[52:55], 0 offset:84 ; 4-byte Folded Spill
	s_nop 0
	buffer_store_dword v6, off, s[52:55], 0 offset:88 ; 4-byte Folded Spill
	s_waitcnt lgkmcnt(0)
	v_mad_u64_u32 v[0:1], s[0:1], s14, v4, 0
	v_mad_u64_u32 v[2:3], s[0:1], s12, v82, 0
	v_lshlrev_b32_e32 v108, 4, v82
	s_mul_i32 s6, s13, 0x93
	v_mad_u64_u32 v[4:5], s[0:1], s15, v4, v[1:2]
	s_load_dwordx2 s[14:15], s[4:5], 0x0
	s_mul_hi_u32 s7, s12, 0x93
	v_mad_u64_u32 v[5:6], s[0:1], s13, v82, v[3:4]
	v_mov_b32_e32 v1, v4
	v_lshlrev_b64 v[0:1], 4, v[0:1]
	v_mov_b32_e32 v6, s11
	v_mov_b32_e32 v3, v5
	v_add_co_u32_e32 v4, vcc, s10, v0
	v_addc_co_u32_e32 v5, vcc, v6, v1, vcc
	v_lshlrev_b64 v[0:1], 4, v[2:3]
	s_waitcnt lgkmcnt(0)
	v_mov_b32_e32 v2, s15
	v_add_co_u32_e32 v0, vcc, v4, v0
	v_add_co_u32_e64 v104, s[0:1], s14, v108
	s_add_i32 s7, s7, s6
	s_mul_i32 s6, s12, 0x93
	v_addc_co_u32_e32 v1, vcc, v5, v1, vcc
	v_addc_co_u32_e64 v105, vcc, 0, v2, s[0:1]
	s_lshl_b64 s[16:17], s[6:7], 4
	v_mov_b32_e32 v62, s17
	v_add_co_u32_e32 v2, vcc, s16, v0
	v_addc_co_u32_e32 v3, vcc, v1, v62, vcc
	global_load_dwordx4 v[14:17], v[0:1], off
	global_load_dwordx4 v[18:21], v[2:3], off
	global_load_dwordx4 v[70:73], v108, s[14:15]
	global_load_dwordx4 v[117:120], v108, s[14:15] offset:2352
	v_add_co_u32_e32 v0, vcc, s16, v2
	v_addc_co_u32_e32 v1, vcc, v3, v62, vcc
	s_movk_i32 s6, 0x1000
	v_add_co_u32_e32 v2, vcc, s6, v104
	v_addc_co_u32_e32 v3, vcc, 0, v105, vcc
	global_load_dwordx4 v[22:25], v[0:1], off
	v_add_co_u32_e32 v0, vcc, s16, v0
	v_addc_co_u32_e32 v1, vcc, v1, v62, vcc
	v_add_co_u32_e32 v6, vcc, s16, v0
	v_addc_co_u32_e32 v7, vcc, v1, v62, vcc
	s_movk_i32 s6, 0x2000
	v_add_co_u32_e32 v4, vcc, s6, v104
	v_addc_co_u32_e32 v5, vcc, 0, v105, vcc
	global_load_dwordx4 v[121:124], v[2:3], off offset:608
	global_load_dwordx4 v[87:90], v[2:3], off offset:2960
	global_load_dwordx4 v[26:29], v[0:1], off
	global_load_dwordx4 v[30:33], v[6:7], off
	v_add_co_u32_e32 v0, vcc, s16, v6
	v_addc_co_u32_e32 v1, vcc, v7, v62, vcc
	global_load_dwordx4 v[34:37], v[0:1], off
	global_load_dwordx4 v[125:128], v[4:5], off offset:1216
	global_load_dwordx4 v[91:94], v[4:5], off offset:3568
	v_add_co_u32_e32 v0, vcc, s16, v0
	v_addc_co_u32_e32 v1, vcc, v1, v62, vcc
	s_movk_i32 s6, 0x3000
	v_add_co_u32_e32 v6, vcc, s6, v104
	v_addc_co_u32_e32 v7, vcc, 0, v105, vcc
	v_add_co_u32_e32 v8, vcc, s16, v0
	v_addc_co_u32_e32 v9, vcc, v1, v62, vcc
	s_movk_i32 s6, 0x4000
	global_load_dwordx4 v[38:41], v[0:1], off
	v_add_co_u32_e32 v0, vcc, s6, v104
	v_addc_co_u32_e32 v1, vcc, 0, v105, vcc
	global_load_dwordx4 v[42:45], v[8:9], off
	v_add_co_u32_e32 v8, vcc, s16, v8
	v_addc_co_u32_e32 v9, vcc, v9, v62, vcc
	v_add_co_u32_e32 v10, vcc, s16, v8
	v_addc_co_u32_e32 v11, vcc, v9, v62, vcc
	s_movk_i32 s6, 0x5000
	global_load_dwordx4 v[95:98], v[6:7], off offset:1824
	global_load_dwordx4 v[46:49], v[8:9], off
	global_load_dwordx4 v[129:132], v[0:1], off offset:80
	global_load_dwordx4 v[99:102], v[0:1], off offset:2432
	v_add_co_u32_e32 v8, vcc, s6, v104
	v_addc_co_u32_e32 v9, vcc, 0, v105, vcc
	global_load_dwordx4 v[50:53], v[10:11], off
	v_add_co_u32_e32 v10, vcc, s16, v10
	v_addc_co_u32_e32 v11, vcc, v11, v62, vcc
	v_add_co_u32_e32 v12, vcc, s16, v10
	v_addc_co_u32_e32 v13, vcc, v11, v62, vcc
	s_movk_i32 s6, 0x6000
	global_load_dwordx4 v[54:57], v[10:11], off
	global_load_dwordx4 v[133:136], v[8:9], off offset:688
	global_load_dwordx4 v[83:86], v[8:9], off offset:3040
	v_add_co_u32_e32 v10, vcc, s6, v104
	s_waitcnt vmcnt(19)
	v_mul_f64 v[66:67], v[16:17], v[72:73]
	v_addc_co_u32_e32 v11, vcc, 0, v105, vcc
	global_load_dwordx4 v[58:61], v[12:13], off
	v_add_co_u32_e32 v12, vcc, s16, v12
	v_addc_co_u32_e32 v13, vcc, v13, v62, vcc
	global_load_dwordx4 v[109:112], v[10:11], off offset:1296
	global_load_dwordx4 v[62:65], v[12:13], off
	global_load_dwordx4 v[113:116], v[10:11], off offset:3648
	v_mul_f64 v[68:69], v[14:15], v[72:73]
	v_fma_f64 v[14:15], v[14:15], v[70:71], v[66:67]
	buffer_store_dword v70, off, s[52:55], 0 offset:284 ; 4-byte Folded Spill
	s_nop 0
	buffer_store_dword v71, off, s[52:55], 0 offset:288 ; 4-byte Folded Spill
	buffer_store_dword v72, off, s[52:55], 0 offset:292 ; 4-byte Folded Spill
	buffer_store_dword v73, off, s[52:55], 0 offset:296 ; 4-byte Folded Spill
	s_waitcnt vmcnt(26)
	v_mul_f64 v[66:67], v[20:21], v[119:120]
	v_cmp_gt_u16_e32 vcc, 56, v82
	s_waitcnt vmcnt(24)
	v_mul_f64 v[72:73], v[22:23], v[123:124]
	s_waitcnt vmcnt(22)
	v_mul_f64 v[74:75], v[28:29], v[89:90]
	v_mul_f64 v[76:77], v[26:27], v[89:90]
	s_waitcnt vmcnt(19)
	v_mul_f64 v[78:79], v[32:33], v[127:128]
	v_mul_f64 v[80:81], v[30:31], v[127:128]
	v_fma_f64 v[26:27], v[26:27], v[87:88], v[74:75]
	v_fma_f64 v[30:31], v[30:31], v[125:126], v[78:79]
	v_fma_f64 v[16:17], v[16:17], v[70:71], -v[68:69]
	v_mul_f64 v[70:71], v[24:25], v[123:124]
	v_mul_f64 v[68:69], v[18:19], v[119:120]
	v_fma_f64 v[18:19], v[18:19], v[117:118], v[66:67]
	buffer_store_dword v117, off, s[52:55], 0 offset:204 ; 4-byte Folded Spill
	s_nop 0
	buffer_store_dword v118, off, s[52:55], 0 offset:208 ; 4-byte Folded Spill
	buffer_store_dword v119, off, s[52:55], 0 offset:212 ; 4-byte Folded Spill
	;; [unrolled: 1-line block ×3, first 2 shown]
	v_fma_f64 v[22:23], v[22:23], v[121:122], v[70:71]
	buffer_store_dword v121, off, s[52:55], 0 offset:220 ; 4-byte Folded Spill
	s_nop 0
	buffer_store_dword v122, off, s[52:55], 0 offset:224 ; 4-byte Folded Spill
	buffer_store_dword v123, off, s[52:55], 0 offset:228 ; 4-byte Folded Spill
	buffer_store_dword v124, off, s[52:55], 0 offset:232 ; 4-byte Folded Spill
	buffer_store_dword v87, off, s[52:55], 0 offset:108 ; 4-byte Folded Spill
	s_nop 0
	buffer_store_dword v88, off, s[52:55], 0 offset:112 ; 4-byte Folded Spill
	buffer_store_dword v89, off, s[52:55], 0 offset:116 ; 4-byte Folded Spill
	buffer_store_dword v90, off, s[52:55], 0 offset:120 ; 4-byte Folded Spill
	;; [unrolled: 5-line block ×3, first 2 shown]
	s_load_dwordx2 s[6:7], s[4:5], 0x38
	s_load_dwordx4 s[8:11], s[2:3], 0x0
	v_fma_f64 v[20:21], v[20:21], v[117:118], -v[68:69]
	v_fma_f64 v[24:25], v[24:25], v[121:122], -v[72:73]
	v_fma_f64 v[28:29], v[28:29], v[87:88], -v[76:77]
	v_fma_f64 v[32:33], v[32:33], v[125:126], -v[80:81]
	ds_write_b128 v108, v[14:17]
	ds_write_b128 v108, v[18:21] offset:2352
	ds_write_b128 v108, v[22:25] offset:4704
	;; [unrolled: 1-line block ×4, first 2 shown]
	s_waitcnt vmcnt(34)
	v_mul_f64 v[14:15], v[36:37], v[93:94]
	s_waitcnt vmcnt(31)
	v_mul_f64 v[18:19], v[40:41], v[97:98]
	;; [unrolled: 2-line block ×3, first 2 shown]
	v_mul_f64 v[16:17], v[34:35], v[93:94]
	v_mul_f64 v[20:21], v[38:39], v[97:98]
	;; [unrolled: 1-line block ×3, first 2 shown]
	s_waitcnt vmcnt(28)
	v_mul_f64 v[26:27], v[48:49], v[101:102]
	s_waitcnt vmcnt(25)
	v_mul_f64 v[30:31], v[52:53], v[135:136]
	v_fma_f64 v[14:15], v[34:35], v[91:92], v[14:15]
	buffer_store_dword v91, off, s[52:55], 0 offset:124 ; 4-byte Folded Spill
	s_nop 0
	buffer_store_dword v92, off, s[52:55], 0 offset:128 ; 4-byte Folded Spill
	buffer_store_dword v93, off, s[52:55], 0 offset:132 ; 4-byte Folded Spill
	buffer_store_dword v94, off, s[52:55], 0 offset:136 ; 4-byte Folded Spill
	v_fma_f64 v[18:19], v[38:39], v[95:96], v[18:19]
	buffer_store_dword v95, off, s[52:55], 0 offset:140 ; 4-byte Folded Spill
	s_nop 0
	buffer_store_dword v96, off, s[52:55], 0 offset:144 ; 4-byte Folded Spill
	buffer_store_dword v97, off, s[52:55], 0 offset:148 ; 4-byte Folded Spill
	buffer_store_dword v98, off, s[52:55], 0 offset:152 ; 4-byte Folded Spill
	;; [unrolled: 6-line block ×3, first 2 shown]
	s_waitcnt vmcnt(36)
	v_mul_f64 v[34:35], v[56:57], v[85:86]
	s_waitcnt vmcnt(34)
	v_mul_f64 v[38:39], v[60:61], v[111:112]
	;; [unrolled: 2-line block ×3, first 2 shown]
	v_mul_f64 v[28:29], v[46:47], v[101:102]
	v_fma_f64 v[26:27], v[46:47], v[99:100], v[26:27]
	buffer_store_dword v99, off, s[52:55], 0 offset:156 ; 4-byte Folded Spill
	s_nop 0
	buffer_store_dword v100, off, s[52:55], 0 offset:160 ; 4-byte Folded Spill
	buffer_store_dword v101, off, s[52:55], 0 offset:164 ; 4-byte Folded Spill
	;; [unrolled: 1-line block ×3, first 2 shown]
	v_mul_f64 v[32:33], v[50:51], v[135:136]
	v_fma_f64 v[30:31], v[50:51], v[133:134], v[30:31]
	buffer_store_dword v133, off, s[52:55], 0 offset:268 ; 4-byte Folded Spill
	s_nop 0
	buffer_store_dword v134, off, s[52:55], 0 offset:272 ; 4-byte Folded Spill
	buffer_store_dword v135, off, s[52:55], 0 offset:276 ; 4-byte Folded Spill
	;; [unrolled: 1-line block ×3, first 2 shown]
	v_fma_f64 v[34:35], v[54:55], v[83:84], v[34:35]
	v_fma_f64 v[38:39], v[58:59], v[109:110], v[38:39]
	;; [unrolled: 1-line block ×3, first 2 shown]
	v_fma_f64 v[16:17], v[36:37], v[91:92], -v[16:17]
	v_mul_f64 v[36:37], v[54:55], v[85:86]
	buffer_store_dword v83, off, s[52:55], 0 offset:92 ; 4-byte Folded Spill
	s_nop 0
	buffer_store_dword v84, off, s[52:55], 0 offset:96 ; 4-byte Folded Spill
	buffer_store_dword v85, off, s[52:55], 0 offset:100 ; 4-byte Folded Spill
	buffer_store_dword v86, off, s[52:55], 0 offset:104 ; 4-byte Folded Spill
	v_fma_f64 v[20:21], v[40:41], v[95:96], -v[20:21]
	v_mul_f64 v[40:41], v[58:59], v[111:112]
	buffer_store_dword v109, off, s[52:55], 0 offset:172 ; 4-byte Folded Spill
	s_nop 0
	buffer_store_dword v110, off, s[52:55], 0 offset:176 ; 4-byte Folded Spill
	buffer_store_dword v111, off, s[52:55], 0 offset:180 ; 4-byte Folded Spill
	buffer_store_dword v112, off, s[52:55], 0 offset:184 ; 4-byte Folded Spill
	;; [unrolled: 7-line block ×3, first 2 shown]
	v_fma_f64 v[28:29], v[48:49], v[99:100], -v[28:29]
	v_fma_f64 v[32:33], v[52:53], v[133:134], -v[32:33]
	;; [unrolled: 1-line block ×5, first 2 shown]
	ds_write_b128 v108, v[14:17] offset:11760
	ds_write_b128 v108, v[18:21] offset:14112
	;; [unrolled: 1-line block ×8, first 2 shown]
	buffer_store_dword v82, off, s[52:55], 0 ; 4-byte Folded Spill
	s_and_saveexec_b64 s[18:19], vcc
	s_cbranch_execz .LBB0_3
; %bb.2:
	v_mov_b32_e32 v14, 0xffff9770
	v_mad_u64_u32 v[16:17], s[2:3], s12, v14, v[12:13]
	s_mul_i32 s2, s13, 0xffff9770
	s_sub_i32 s2, s2, s12
	v_add_u32_e32 v17, s2, v17
	v_mov_b32_e32 v100, s17
	v_add_co_u32_e64 v28, s[2:3], s16, v16
	global_load_dwordx4 v[12:15], v[16:17], off
	v_addc_co_u32_e64 v29, s[2:3], v17, v100, s[2:3]
	global_load_dwordx4 v[16:19], v[28:29], off
	global_load_dwordx4 v[20:23], v[104:105], off offset:1456
	global_load_dwordx4 v[24:27], v[104:105], off offset:3808
	v_add_co_u32_e64 v32, s[2:3], s16, v28
	v_addc_co_u32_e64 v33, s[2:3], v29, v100, s[2:3]
	v_add_co_u32_e64 v44, s[2:3], s16, v32
	v_addc_co_u32_e64 v45, s[2:3], v33, v100, s[2:3]
	global_load_dwordx4 v[28:31], v[32:33], off
	s_nop 0
	global_load_dwordx4 v[32:35], v[44:45], off
	global_load_dwordx4 v[36:39], v[2:3], off offset:2064
	global_load_dwordx4 v[40:43], v[4:5], off offset:320
	v_add_co_u32_e64 v2, s[2:3], s16, v44
	v_addc_co_u32_e64 v3, s[2:3], v45, v100, s[2:3]
	global_load_dwordx4 v[44:47], v[2:3], off
	v_add_co_u32_e64 v2, s[2:3], s16, v2
	v_addc_co_u32_e64 v3, s[2:3], v3, v100, s[2:3]
	global_load_dwordx4 v[48:51], v[2:3], off
	global_load_dwordx4 v[52:55], v[4:5], off offset:2672
	global_load_dwordx4 v[56:59], v[6:7], off offset:928
	v_add_co_u32_e64 v60, s[2:3], s16, v2
	v_addc_co_u32_e64 v61, s[2:3], v3, v100, s[2:3]
	v_add_co_u32_e64 v72, s[2:3], s16, v60
	v_addc_co_u32_e64 v73, s[2:3], v61, v100, s[2:3]
	global_load_dwordx4 v[2:5], v[60:61], off
	s_nop 0
	global_load_dwordx4 v[60:63], v[72:73], off
	global_load_dwordx4 v[64:67], v[6:7], off offset:3280
                                        ; kill: killed $vgpr6 killed $vgpr7
	global_load_dwordx4 v[68:71], v[0:1], off offset:1536
	v_add_co_u32_e64 v6, s[2:3], s16, v72
	v_addc_co_u32_e64 v7, s[2:3], v73, v100, s[2:3]
	v_add_co_u32_e64 v84, s[2:3], s16, v6
	global_load_dwordx4 v[72:75], v[6:7], off
	v_addc_co_u32_e64 v85, s[2:3], v7, v100, s[2:3]
	global_load_dwordx4 v[76:79], v[84:85], off
	global_load_dwordx4 v[80:83], v[0:1], off offset:3888
	s_nop 0
	global_load_dwordx4 v[6:9], v[8:9], off offset:2144
	v_add_co_u32_e64 v0, s[2:3], s16, v84
	v_addc_co_u32_e64 v1, s[2:3], v85, v100, s[2:3]
	global_load_dwordx4 v[84:87], v[0:1], off
	v_add_co_u32_e64 v0, s[2:3], s16, v0
	v_addc_co_u32_e64 v1, s[2:3], v1, v100, s[2:3]
	global_load_dwordx4 v[88:91], v[0:1], off
	global_load_dwordx4 v[92:95], v[10:11], off offset:400
	global_load_dwordx4 v[96:99], v[10:11], off offset:2752
	v_add_co_u32_e64 v0, s[2:3], s16, v0
	v_addc_co_u32_e64 v1, s[2:3], v1, v100, s[2:3]
	s_movk_i32 s2, 0x7000
	v_add_co_u32_e64 v10, s[2:3], s2, v104
	v_addc_co_u32_e64 v11, s[2:3], 0, v105, s[2:3]
	global_load_dwordx4 v[100:103], v[10:11], off offset:1008
	global_load_dwordx4 v[109:112], v[0:1], off
	s_waitcnt vmcnt(23)
	v_mul_f64 v[0:1], v[14:15], v[22:23]
	v_mul_f64 v[22:23], v[12:13], v[22:23]
	s_waitcnt vmcnt(22)
	v_mul_f64 v[106:107], v[18:19], v[26:27]
	v_mul_f64 v[26:27], v[16:17], v[26:27]
	v_fma_f64 v[10:11], v[12:13], v[20:21], v[0:1]
	v_fma_f64 v[12:13], v[14:15], v[20:21], -v[22:23]
	s_waitcnt vmcnt(19)
	v_mul_f64 v[113:114], v[30:31], v[38:39]
	v_mul_f64 v[38:39], v[28:29], v[38:39]
	s_waitcnt vmcnt(18)
	v_mul_f64 v[115:116], v[34:35], v[42:43]
	v_mul_f64 v[0:1], v[32:33], v[42:43]
	v_fma_f64 v[14:15], v[16:17], v[24:25], v[106:107]
	v_fma_f64 v[16:17], v[18:19], v[24:25], -v[26:27]
	v_fma_f64 v[18:19], v[28:29], v[36:37], v[113:114]
	v_fma_f64 v[20:21], v[30:31], v[36:37], -v[38:39]
	s_waitcnt vmcnt(15)
	v_mul_f64 v[42:43], v[46:47], v[54:55]
	v_mul_f64 v[54:55], v[44:45], v[54:55]
	v_fma_f64 v[22:23], v[32:33], v[40:41], v[115:116]
	v_fma_f64 v[24:25], v[34:35], v[40:41], -v[0:1]
	s_waitcnt vmcnt(14)
	v_mul_f64 v[0:1], v[50:51], v[58:59]
	v_fma_f64 v[26:27], v[44:45], v[52:53], v[42:43]
	v_fma_f64 v[28:29], v[46:47], v[52:53], -v[54:55]
	ds_write_b128 v108, v[10:13] offset:1456
	ds_write_b128 v108, v[14:17] offset:3808
	;; [unrolled: 1-line block ×5, first 2 shown]
	s_waitcnt vmcnt(11)
	v_mul_f64 v[14:15], v[4:5], v[66:67]
	v_mul_f64 v[16:17], v[2:3], v[66:67]
	s_waitcnt vmcnt(10)
	v_mul_f64 v[18:19], v[62:63], v[70:71]
	v_mul_f64 v[20:21], v[60:61], v[70:71]
	v_mul_f64 v[12:13], v[48:49], v[58:59]
	v_fma_f64 v[10:11], v[48:49], v[56:57], v[0:1]
	s_waitcnt vmcnt(7)
	v_mul_f64 v[22:23], v[74:75], v[82:83]
	v_mul_f64 v[24:25], v[72:73], v[82:83]
	v_fma_f64 v[0:1], v[2:3], v[64:65], v[14:15]
	v_fma_f64 v[2:3], v[4:5], v[64:65], -v[16:17]
	s_waitcnt vmcnt(6)
	v_mul_f64 v[4:5], v[78:79], v[8:9]
	v_mul_f64 v[8:9], v[76:77], v[8:9]
	v_fma_f64 v[14:15], v[60:61], v[68:69], v[18:19]
	v_fma_f64 v[16:17], v[62:63], v[68:69], -v[20:21]
	v_fma_f64 v[18:19], v[72:73], v[80:81], v[22:23]
	v_fma_f64 v[20:21], v[74:75], v[80:81], -v[24:25]
	s_waitcnt vmcnt(3)
	v_mul_f64 v[22:23], v[86:87], v[94:95]
	v_mul_f64 v[24:25], v[84:85], v[94:95]
	s_waitcnt vmcnt(2)
	v_mul_f64 v[26:27], v[90:91], v[98:99]
	v_mul_f64 v[28:29], v[88:89], v[98:99]
	v_fma_f64 v[12:13], v[50:51], v[56:57], -v[12:13]
	v_fma_f64 v[4:5], v[76:77], v[6:7], v[4:5]
	v_fma_f64 v[6:7], v[78:79], v[6:7], -v[8:9]
	v_fma_f64 v[22:23], v[84:85], v[92:93], v[22:23]
	;; [unrolled: 2-line block ×3, first 2 shown]
	s_waitcnt vmcnt(0)
	v_mul_f64 v[30:31], v[111:112], v[102:103]
	v_mul_f64 v[32:33], v[109:110], v[102:103]
	v_fma_f64 v[28:29], v[90:91], v[96:97], -v[28:29]
	v_fma_f64 v[30:31], v[109:110], v[100:101], v[30:31]
	v_fma_f64 v[32:33], v[111:112], v[100:101], -v[32:33]
	ds_write_b128 v108, v[10:13] offset:13216
	ds_write_b128 v108, v[0:3] offset:15568
	;; [unrolled: 1-line block ×8, first 2 shown]
.LBB0_3:
	s_or_b64 exec, exec, s[18:19]
	s_waitcnt vmcnt(0) lgkmcnt(0)
	s_barrier
	ds_read_b128 v[60:63], v108
	ds_read_b128 v[100:103], v108 offset:2352
	ds_read_b128 v[64:67], v108 offset:4704
	ds_read_b128 v[52:55], v108 offset:7056
	ds_read_b128 v[44:47], v108 offset:9408
	ds_read_b128 v[36:39], v108 offset:11760
	ds_read_b128 v[28:31], v108 offset:14112
	ds_read_b128 v[32:35], v108 offset:16464
	ds_read_b128 v[40:43], v108 offset:18816
	ds_read_b128 v[48:51], v108 offset:21168
	ds_read_b128 v[56:59], v108 offset:23520
	ds_read_b128 v[68:71], v108 offset:25872
	ds_read_b128 v[24:27], v108 offset:28224
	s_load_dwordx2 s[4:5], s[4:5], 0x8
                                        ; implicit-def: $vgpr0_vgpr1
                                        ; implicit-def: $vgpr4_vgpr5
                                        ; implicit-def: $vgpr8_vgpr9
                                        ; implicit-def: $vgpr12_vgpr13
                                        ; implicit-def: $vgpr16_vgpr17
                                        ; implicit-def: $vgpr20_vgpr21
                                        ; implicit-def: $vgpr72_vgpr73
                                        ; implicit-def: $vgpr76_vgpr77
                                        ; implicit-def: $vgpr80_vgpr81
                                        ; implicit-def: $vgpr84_vgpr85
                                        ; implicit-def: $vgpr88_vgpr89
                                        ; implicit-def: $vgpr92_vgpr93
                                        ; implicit-def: $vgpr96_vgpr97
	s_and_saveexec_b64 s[2:3], vcc
	s_cbranch_execz .LBB0_5
; %bb.4:
	ds_read_b128 v[0:3], v108 offset:1456
	ds_read_b128 v[4:7], v108 offset:3808
	;; [unrolled: 1-line block ×13, first 2 shown]
.LBB0_5:
	s_or_b64 exec, exec, s[2:3]
	s_waitcnt lgkmcnt(0)
	v_add_f64 v[106:107], v[60:61], v[100:101]
	v_add_f64 v[109:110], v[62:63], v[102:103]
	;; [unrolled: 1-line block ×3, first 2 shown]
	v_add_f64 v[100:101], v[100:101], -v[24:25]
	s_mov_b32 s26, 0x2ef20147
	s_mov_b32 s36, 0x24c2f84
	;; [unrolled: 1-line block ×4, first 2 shown]
	v_add_f64 v[106:107], v[106:107], v[64:65]
	v_add_f64 v[109:110], v[109:110], v[66:67]
	;; [unrolled: 1-line block ×3, first 2 shown]
	v_add_f64 v[102:103], v[102:103], -v[26:27]
	v_mul_f64 v[129:130], v[100:101], s[26:27]
	v_mul_f64 v[133:134], v[100:101], s[36:37]
	s_mov_b32 s22, 0xb2365da1
	s_mov_b32 s20, 0xd0032e0c
	v_add_f64 v[106:107], v[106:107], v[52:53]
	v_add_f64 v[109:110], v[109:110], v[54:55]
	s_mov_b32 s23, 0xbfd6b1d8
	s_mov_b32 s21, 0xbfe7f3cc
	v_mul_f64 v[127:128], v[102:103], s[26:27]
	v_mul_f64 v[131:132], v[102:103], s[36:37]
	v_fma_f64 v[149:150], v[113:114], s[22:23], v[129:130]
	v_fma_f64 v[153:154], v[113:114], s[20:21], v[133:134]
	v_add_f64 v[106:107], v[106:107], v[44:45]
	v_add_f64 v[109:110], v[109:110], v[46:47]
	s_mov_b32 s34, 0x4267c47c
	s_mov_b32 s28, 0x42a4c3d2
	;; [unrolled: 1-line block ×6, first 2 shown]
	v_add_f64 v[106:107], v[106:107], v[36:37]
	v_add_f64 v[109:110], v[109:110], v[38:39]
	s_mov_b32 s31, 0xbfefc445
	s_mov_b32 s39, 0xbfcea1e5
	v_mul_f64 v[115:116], v[102:103], s[34:35]
	v_mul_f64 v[117:118], v[100:101], s[34:35]
	;; [unrolled: 1-line block ×4, first 2 shown]
	v_add_f64 v[106:107], v[106:107], v[28:29]
	v_add_f64 v[109:110], v[109:110], v[30:31]
	v_mul_f64 v[123:124], v[102:103], s[30:31]
	v_mul_f64 v[125:126], v[100:101], s[30:31]
	v_fma_f64 v[147:148], v[111:112], s[22:23], -v[127:128]
	v_fma_f64 v[127:128], v[111:112], s[22:23], v[127:128]
	v_fma_f64 v[129:130], v[113:114], s[22:23], -v[129:130]
	v_fma_f64 v[151:152], v[111:112], s[20:21], -v[131:132]
	v_add_f64 v[106:107], v[106:107], v[32:33]
	v_add_f64 v[109:110], v[109:110], v[34:35]
	v_mul_f64 v[102:103], v[102:103], s[38:39]
	v_mul_f64 v[100:101], v[100:101], s[38:39]
	s_mov_b32 s12, 0xe00740e9
	s_mov_b32 s16, 0x1ea71119
	;; [unrolled: 1-line block ×4, first 2 shown]
	v_add_f64 v[106:107], v[106:107], v[40:41]
	v_add_f64 v[109:110], v[109:110], v[42:43]
	s_mov_b32 s13, 0x3fec55a7
	s_mov_b32 s17, 0x3fe22d96
	;; [unrolled: 1-line block ×4, first 2 shown]
	v_fma_f64 v[135:136], v[111:112], s[12:13], -v[115:116]
	v_fma_f64 v[137:138], v[113:114], s[12:13], v[117:118]
	v_add_f64 v[106:107], v[106:107], v[48:49]
	v_add_f64 v[109:110], v[109:110], v[50:51]
	v_fma_f64 v[115:116], v[111:112], s[12:13], v[115:116]
	v_fma_f64 v[117:118], v[113:114], s[12:13], -v[117:118]
	v_fma_f64 v[139:140], v[111:112], s[16:17], -v[119:120]
	v_fma_f64 v[141:142], v[113:114], s[16:17], v[121:122]
	v_fma_f64 v[119:120], v[111:112], s[16:17], v[119:120]
	v_fma_f64 v[121:122], v[113:114], s[16:17], -v[121:122]
	v_add_f64 v[106:107], v[106:107], v[56:57]
	v_add_f64 v[109:110], v[109:110], v[58:59]
	v_fma_f64 v[143:144], v[111:112], s[18:19], -v[123:124]
	v_fma_f64 v[145:146], v[113:114], s[18:19], v[125:126]
	v_fma_f64 v[123:124], v[111:112], s[18:19], v[123:124]
	v_fma_f64 v[125:126], v[113:114], s[18:19], -v[125:126]
	v_fma_f64 v[131:132], v[111:112], s[20:21], v[131:132]
	v_fma_f64 v[133:134], v[113:114], s[20:21], -v[133:134]
	v_add_f64 v[106:107], v[106:107], v[68:69]
	v_add_f64 v[109:110], v[109:110], v[70:71]
	v_fma_f64 v[155:156], v[111:112], s[24:25], -v[102:103]
	v_fma_f64 v[157:158], v[113:114], s[24:25], v[100:101]
	v_fma_f64 v[102:103], v[111:112], s[24:25], v[102:103]
	v_fma_f64 v[100:101], v[113:114], s[24:25], -v[100:101]
	v_add_f64 v[135:136], v[60:61], v[135:136]
	v_add_f64 v[137:138], v[62:63], v[137:138]
	;; [unrolled: 1-line block ×5, first 2 shown]
	v_add_f64 v[153:154], v[64:65], -v[68:69]
	v_add_f64 v[26:27], v[109:110], v[26:27]
	v_add_f64 v[109:110], v[60:61], v[127:128]
	v_add_f64 v[127:128], v[62:63], v[129:130]
	v_add_f64 v[129:130], v[60:61], v[151:152]
	v_add_f64 v[151:152], v[66:67], -v[70:71]
	v_add_f64 v[66:67], v[66:67], v[70:71]
	v_add_f64 v[115:116], v[60:61], v[115:116]
	v_mul_f64 v[70:71], v[153:154], s[28:29]
	v_add_f64 v[117:118], v[62:63], v[117:118]
	v_add_f64 v[139:140], v[60:61], v[139:140]
	;; [unrolled: 1-line block ×11, first 2 shown]
	v_mul_f64 v[68:69], v[151:152], s[28:29]
	v_add_f64 v[111:112], v[60:61], v[131:132]
	v_add_f64 v[113:114], v[62:63], v[133:134]
	v_fma_f64 v[133:134], v[66:67], s[16:17], v[70:71]
	v_add_f64 v[155:156], v[60:61], v[155:156]
	v_add_f64 v[157:158], v[62:63], v[157:158]
	;; [unrolled: 1-line block ×4, first 2 shown]
	v_mul_f64 v[100:101], v[151:152], s[26:27]
	v_mul_f64 v[102:103], v[153:154], s[26:27]
	v_fma_f64 v[131:132], v[64:65], s[16:17], -v[68:69]
	v_add_f64 v[133:134], v[133:134], v[137:138]
	v_mul_f64 v[137:138], v[153:154], s[38:39]
	v_fma_f64 v[68:69], v[64:65], s[16:17], v[68:69]
	v_fma_f64 v[70:71], v[66:67], s[16:17], -v[70:71]
	s_mov_b32 s43, 0x3fe5384d
	v_fma_f64 v[159:160], v[64:65], s[22:23], -v[100:101]
	v_fma_f64 v[161:162], v[66:67], s[22:23], v[102:103]
	s_mov_b32 s42, s36
	v_fma_f64 v[102:103], v[66:67], s[22:23], -v[102:103]
	v_fma_f64 v[165:166], v[66:67], s[24:25], v[137:138]
	v_add_f64 v[68:69], v[68:69], v[115:116]
	v_add_f64 v[70:71], v[70:71], v[117:118]
	s_mov_b32 s41, 0x3fefc445
	v_add_f64 v[115:116], v[159:160], v[139:140]
	v_add_f64 v[117:118], v[161:162], v[141:142]
	v_mul_f64 v[139:140], v[151:152], s[42:43]
	v_mul_f64 v[141:142], v[153:154], s[42:43]
	s_mov_b32 s40, s30
	v_add_f64 v[131:132], v[131:132], v[135:136]
	v_mul_f64 v[135:136], v[151:152], s[38:39]
	v_add_f64 v[102:103], v[102:103], v[121:122]
	v_add_f64 v[121:122], v[165:166], v[145:146]
	v_mul_f64 v[145:146], v[153:154], s[40:41]
	v_fma_f64 v[159:160], v[64:65], s[20:21], -v[139:140]
	v_fma_f64 v[161:162], v[66:67], s[20:21], v[141:142]
	v_fma_f64 v[139:140], v[64:65], s[20:21], v[139:140]
	v_fma_f64 v[141:142], v[66:67], s[20:21], -v[141:142]
	v_fma_f64 v[100:101], v[64:65], s[22:23], v[100:101]
	v_fma_f64 v[163:164], v[64:65], s[24:25], -v[135:136]
	;; [unrolled: 2-line block ×3, first 2 shown]
	v_fma_f64 v[165:166], v[66:67], s[18:19], v[145:146]
	s_mov_b32 s45, 0x3fddbe06
	v_add_f64 v[109:110], v[139:140], v[109:110]
	v_add_f64 v[127:128], v[141:142], v[127:128]
	v_add_f64 v[139:140], v[54:55], -v[58:59]
	v_add_f64 v[141:142], v[52:53], -v[56:57]
	s_mov_b32 s44, s34
	v_add_f64 v[100:101], v[100:101], v[119:120]
	v_add_f64 v[119:120], v[163:164], v[143:144]
	v_mul_f64 v[143:144], v[151:152], s[40:41]
	v_add_f64 v[123:124], v[135:136], v[123:124]
	v_add_f64 v[125:126], v[137:138], v[125:126]
	v_add_f64 v[135:136], v[159:160], v[147:148]
	v_add_f64 v[137:138], v[165:166], v[149:150]
	v_mul_f64 v[147:148], v[151:152], s[44:45]
	v_mul_f64 v[149:150], v[153:154], s[44:45]
	v_add_f64 v[52:53], v[52:53], v[56:57]
	v_add_f64 v[54:55], v[54:55], v[58:59]
	v_mul_f64 v[56:57], v[139:140], s[30:31]
	v_mul_f64 v[58:59], v[141:142], s[30:31]
	v_fma_f64 v[163:164], v[64:65], s[18:19], -v[143:144]
	v_fma_f64 v[143:144], v[64:65], s[18:19], v[143:144]
	v_fma_f64 v[145:146], v[66:67], s[18:19], -v[145:146]
	v_fma_f64 v[151:152], v[64:65], s[12:13], -v[147:148]
	v_fma_f64 v[153:154], v[66:67], s[12:13], v[149:150]
	v_fma_f64 v[64:65], v[64:65], s[12:13], v[147:148]
	v_fma_f64 v[66:67], v[66:67], s[12:13], -v[149:150]
	v_fma_f64 v[147:148], v[52:53], s[18:19], -v[56:57]
	v_fma_f64 v[149:150], v[54:55], s[18:19], v[58:59]
	s_mov_b32 s47, 0x3fedeba7
	s_mov_b32 s46, s26
	v_fma_f64 v[56:57], v[52:53], s[18:19], v[56:57]
	v_fma_f64 v[58:59], v[54:55], s[18:19], -v[58:59]
	v_add_f64 v[60:61], v[64:65], v[60:61]
	v_add_f64 v[62:63], v[66:67], v[62:63]
	v_add_f64 v[64:65], v[147:148], v[131:132]
	v_add_f64 v[66:67], v[149:150], v[133:134]
	v_mul_f64 v[131:132], v[139:140], s[38:39]
	v_mul_f64 v[133:134], v[141:142], s[38:39]
	;; [unrolled: 1-line block ×4, first 2 shown]
	v_add_f64 v[111:112], v[143:144], v[111:112]
	v_add_f64 v[113:114], v[145:146], v[113:114]
	;; [unrolled: 1-line block ×4, first 2 shown]
	v_fma_f64 v[151:152], v[52:53], s[24:25], -v[131:132]
	v_fma_f64 v[153:154], v[54:55], s[24:25], v[133:134]
	v_fma_f64 v[131:132], v[52:53], s[24:25], v[131:132]
	v_fma_f64 v[133:134], v[54:55], s[24:25], -v[133:134]
	v_add_f64 v[56:57], v[56:57], v[68:69]
	v_add_f64 v[58:59], v[58:59], v[70:71]
	v_fma_f64 v[68:69], v[52:53], s[22:23], -v[147:148]
	v_fma_f64 v[70:71], v[54:55], s[22:23], v[149:150]
	v_add_f64 v[129:130], v[163:164], v[129:130]
	v_add_f64 v[115:116], v[151:152], v[115:116]
	;; [unrolled: 1-line block ×4, first 2 shown]
	v_mul_f64 v[131:132], v[139:140], s[44:45]
	v_mul_f64 v[133:134], v[141:142], s[44:45]
	v_add_f64 v[68:69], v[68:69], v[119:120]
	v_add_f64 v[70:71], v[70:71], v[121:122]
	v_fma_f64 v[119:120], v[52:53], s[22:23], v[147:148]
	v_fma_f64 v[121:122], v[54:55], s[22:23], -v[149:150]
	v_mul_f64 v[147:148], v[139:140], s[28:29]
	v_mul_f64 v[149:150], v[141:142], s[28:29]
	v_add_f64 v[117:118], v[153:154], v[117:118]
	v_fma_f64 v[151:152], v[52:53], s[12:13], -v[131:132]
	v_fma_f64 v[153:154], v[54:55], s[12:13], v[133:134]
	v_fma_f64 v[131:132], v[52:53], s[12:13], v[131:132]
	v_fma_f64 v[133:134], v[54:55], s[12:13], -v[133:134]
	v_add_f64 v[119:120], v[119:120], v[123:124]
	v_add_f64 v[121:122], v[121:122], v[125:126]
	v_fma_f64 v[123:124], v[52:53], s[16:17], -v[147:148]
	v_fma_f64 v[125:126], v[54:55], s[16:17], v[149:150]
	v_add_f64 v[106:107], v[161:162], v[106:107]
	s_mov_b32 s51, 0x3fcea1e5
	v_add_f64 v[109:110], v[131:132], v[109:110]
	v_add_f64 v[127:128], v[133:134], v[127:128]
	v_mul_f64 v[131:132], v[139:140], s[36:37]
	v_mul_f64 v[133:134], v[141:142], s[36:37]
	v_add_f64 v[123:124], v[123:124], v[129:130]
	v_add_f64 v[125:126], v[125:126], v[137:138]
	v_add_f64 v[129:130], v[46:47], -v[50:51]
	v_add_f64 v[137:138], v[44:45], -v[48:49]
	v_fma_f64 v[139:140], v[52:53], s[16:17], v[147:148]
	v_fma_f64 v[141:142], v[54:55], s[16:17], -v[149:150]
	v_fma_f64 v[147:148], v[52:53], s[20:21], -v[131:132]
	v_fma_f64 v[149:150], v[54:55], s[20:21], v[133:134]
	v_add_f64 v[44:45], v[44:45], v[48:49]
	v_add_f64 v[46:47], v[46:47], v[50:51]
	v_mul_f64 v[48:49], v[129:130], s[26:27]
	v_mul_f64 v[50:51], v[137:138], s[26:27]
	v_fma_f64 v[52:53], v[52:53], s[20:21], v[131:132]
	v_fma_f64 v[54:55], v[54:55], s[20:21], -v[133:134]
	v_add_f64 v[111:112], v[139:140], v[111:112]
	v_add_f64 v[113:114], v[141:142], v[113:114]
	;; [unrolled: 1-line block ×4, first 2 shown]
	v_fma_f64 v[139:140], v[44:45], s[22:23], -v[48:49]
	v_fma_f64 v[141:142], v[46:47], s[22:23], v[50:51]
	v_add_f64 v[52:53], v[52:53], v[60:61]
	v_add_f64 v[54:55], v[54:55], v[62:63]
	v_mul_f64 v[60:61], v[129:130], s[42:43]
	v_mul_f64 v[62:63], v[137:138], s[42:43]
	v_fma_f64 v[48:49], v[44:45], s[22:23], v[48:49]
	v_fma_f64 v[50:51], v[46:47], s[22:23], -v[50:51]
	v_add_f64 v[64:65], v[139:140], v[64:65]
	v_add_f64 v[66:67], v[141:142], v[66:67]
	v_mul_f64 v[139:140], v[129:130], s[44:45]
	v_mul_f64 v[141:142], v[137:138], s[44:45]
	v_fma_f64 v[143:144], v[44:45], s[20:21], -v[60:61]
	v_fma_f64 v[145:146], v[46:47], s[20:21], v[62:63]
	v_add_f64 v[48:49], v[48:49], v[56:57]
	v_add_f64 v[50:51], v[50:51], v[58:59]
	v_fma_f64 v[56:57], v[44:45], s[20:21], v[60:61]
	v_fma_f64 v[58:59], v[46:47], s[20:21], -v[62:63]
	v_fma_f64 v[60:61], v[44:45], s[12:13], -v[139:140]
	v_fma_f64 v[62:63], v[46:47], s[12:13], v[141:142]
	v_add_f64 v[115:116], v[143:144], v[115:116]
	v_add_f64 v[117:118], v[145:146], v[117:118]
	v_mul_f64 v[143:144], v[129:130], s[30:31]
	v_mul_f64 v[145:146], v[137:138], s[30:31]
	s_mov_b32 s50, s38
	v_add_f64 v[106:107], v[153:154], v[106:107]
	v_add_f64 v[56:57], v[56:57], v[100:101]
	;; [unrolled: 1-line block ×5, first 2 shown]
	v_fma_f64 v[68:69], v[44:45], s[12:13], v[139:140]
	v_fma_f64 v[70:71], v[46:47], s[12:13], -v[141:142]
	v_fma_f64 v[100:101], v[44:45], s[18:19], -v[143:144]
	v_fma_f64 v[102:103], v[46:47], s[18:19], v[145:146]
	v_mul_f64 v[139:140], v[129:130], s[50:51]
	v_fma_f64 v[141:142], v[44:45], s[18:19], v[143:144]
	v_mul_f64 v[143:144], v[137:138], s[50:51]
	v_fma_f64 v[145:146], v[46:47], s[18:19], -v[145:146]
	v_add_f64 v[68:69], v[68:69], v[119:120]
	s_mov_b32 s49, 0x3fea55e2
	s_mov_b32 s48, s28
	v_add_f64 v[102:103], v[102:103], v[106:107]
	v_fma_f64 v[106:107], v[44:45], s[24:25], -v[139:140]
	v_add_f64 v[135:136], v[151:152], v[135:136]
	v_fma_f64 v[119:120], v[46:47], s[24:25], v[143:144]
	v_add_f64 v[70:71], v[70:71], v[121:122]
	v_add_f64 v[121:122], v[145:146], v[127:128]
	v_mul_f64 v[127:128], v[129:130], s[48:49]
	v_mul_f64 v[129:130], v[137:138], s[48:49]
	v_add_f64 v[109:110], v[141:142], v[109:110]
	v_add_f64 v[106:107], v[106:107], v[123:124]
	v_add_f64 v[123:124], v[38:39], -v[42:43]
	v_add_f64 v[119:120], v[119:120], v[125:126]
	v_add_f64 v[125:126], v[36:37], -v[40:41]
	v_add_f64 v[100:101], v[100:101], v[135:136]
	v_fma_f64 v[135:136], v[44:45], s[24:25], v[139:140]
	v_fma_f64 v[139:140], v[44:45], s[16:17], -v[127:128]
	v_fma_f64 v[141:142], v[46:47], s[16:17], v[129:130]
	v_add_f64 v[36:37], v[36:37], v[40:41]
	v_mul_f64 v[40:41], v[123:124], s[36:37]
	v_add_f64 v[38:39], v[38:39], v[42:43]
	v_mul_f64 v[42:43], v[125:126], s[36:37]
	v_fma_f64 v[44:45], v[44:45], s[16:17], v[127:128]
	v_fma_f64 v[137:138], v[46:47], s[24:25], -v[143:144]
	v_fma_f64 v[46:47], v[46:47], s[16:17], -v[129:130]
	v_add_f64 v[127:128], v[139:140], v[131:132]
	v_add_f64 v[131:132], v[141:142], v[133:134]
	v_fma_f64 v[129:130], v[36:37], s[20:21], -v[40:41]
	v_fma_f64 v[40:41], v[36:37], s[20:21], v[40:41]
	v_fma_f64 v[133:134], v[38:39], s[20:21], v[42:43]
	v_add_f64 v[44:45], v[44:45], v[52:53]
	v_mul_f64 v[52:53], v[123:124], s[40:41]
	v_add_f64 v[111:112], v[135:136], v[111:112]
	v_add_f64 v[46:47], v[46:47], v[54:55]
	v_mul_f64 v[54:55], v[125:126], s[40:41]
	v_add_f64 v[64:65], v[129:130], v[64:65]
	v_fma_f64 v[42:43], v[38:39], s[20:21], -v[42:43]
	v_add_f64 v[66:67], v[133:134], v[66:67]
	v_mul_f64 v[129:130], v[123:124], s[28:29]
	v_mul_f64 v[133:134], v[125:126], s[28:29]
	v_fma_f64 v[135:136], v[36:37], s[18:19], -v[52:53]
	v_add_f64 v[40:41], v[40:41], v[48:49]
	v_fma_f64 v[48:49], v[36:37], s[18:19], v[52:53]
	v_add_f64 v[113:114], v[137:138], v[113:114]
	v_fma_f64 v[137:138], v[38:39], s[18:19], v[54:55]
	v_add_f64 v[42:43], v[42:43], v[50:51]
	v_fma_f64 v[50:51], v[38:39], s[18:19], -v[54:55]
	v_fma_f64 v[52:53], v[36:37], s[16:17], -v[129:130]
	v_fma_f64 v[54:55], v[38:39], s[16:17], v[133:134]
	v_add_f64 v[115:116], v[135:136], v[115:116]
	v_mul_f64 v[135:136], v[123:124], s[50:51]
	v_add_f64 v[48:49], v[48:49], v[56:57]
	v_mul_f64 v[56:57], v[125:126], s[50:51]
	v_add_f64 v[117:118], v[137:138], v[117:118]
	v_add_f64 v[50:51], v[50:51], v[58:59]
	;; [unrolled: 1-line block ×4, first 2 shown]
	v_fma_f64 v[58:59], v[36:37], s[16:17], v[129:130]
	v_fma_f64 v[60:61], v[38:39], s[16:17], -v[133:134]
	v_fma_f64 v[62:63], v[36:37], s[24:25], -v[135:136]
	v_mul_f64 v[129:130], v[123:124], s[44:45]
	v_fma_f64 v[133:134], v[38:39], s[24:25], v[56:57]
	v_fma_f64 v[135:136], v[36:37], s[24:25], v[135:136]
	v_mul_f64 v[137:138], v[125:126], s[44:45]
	v_fma_f64 v[56:57], v[38:39], s[24:25], -v[56:57]
	v_add_f64 v[58:59], v[58:59], v[68:69]
	v_add_f64 v[60:61], v[60:61], v[70:71]
	;; [unrolled: 1-line block ×3, first 2 shown]
	v_fma_f64 v[68:69], v[36:37], s[12:13], -v[129:130]
	v_add_f64 v[70:71], v[133:134], v[102:103]
	v_add_f64 v[100:101], v[135:136], v[109:110]
	v_fma_f64 v[102:103], v[38:39], s[12:13], v[137:138]
	v_add_f64 v[109:110], v[56:57], v[121:122]
	v_fma_f64 v[56:57], v[36:37], s[12:13], v[129:130]
	v_mul_f64 v[121:122], v[123:124], s[26:27]
	v_mul_f64 v[123:124], v[125:126], s[26:27]
	v_add_f64 v[68:69], v[68:69], v[106:107]
	v_add_f64 v[106:107], v[30:31], -v[34:35]
	v_fma_f64 v[125:126], v[38:39], s[12:13], -v[137:138]
	v_add_f64 v[102:103], v[102:103], v[119:120]
	v_add_f64 v[119:120], v[28:29], -v[32:33]
	v_add_f64 v[111:112], v[56:57], v[111:112]
	v_fma_f64 v[56:57], v[36:37], s[22:23], -v[121:122]
	v_fma_f64 v[129:130], v[38:39], s[22:23], v[123:124]
	v_add_f64 v[133:134], v[28:29], v[32:33]
	v_mul_f64 v[28:29], v[106:107], s[38:39]
	v_add_f64 v[113:114], v[125:126], v[113:114]
	v_add_f64 v[125:126], v[30:31], v[34:35]
	v_mul_f64 v[30:31], v[119:120], s[38:39]
	v_fma_f64 v[32:33], v[36:37], s[22:23], v[121:122]
	v_add_f64 v[121:122], v[56:57], v[127:128]
	v_mul_f64 v[56:57], v[106:107], s[44:45]
	v_add_f64 v[127:128], v[129:130], v[131:132]
	v_fma_f64 v[34:35], v[38:39], s[22:23], -v[123:124]
	v_fma_f64 v[36:37], v[133:134], s[24:25], -v[28:29]
	v_mul_f64 v[123:124], v[119:120], s[44:45]
	v_fma_f64 v[38:39], v[125:126], s[24:25], v[30:31]
	v_add_f64 v[129:130], v[32:33], v[44:45]
	v_fma_f64 v[28:29], v[133:134], s[24:25], v[28:29]
	v_fma_f64 v[32:33], v[133:134], s[12:13], -v[56:57]
	v_mul_f64 v[44:45], v[106:107], s[36:37]
	v_fma_f64 v[30:31], v[125:126], s[24:25], -v[30:31]
	v_add_f64 v[131:132], v[34:35], v[46:47]
	v_add_f64 v[36:37], v[36:37], v[64:65]
	v_fma_f64 v[34:35], v[125:126], s[12:13], v[123:124]
	v_add_f64 v[38:39], v[38:39], v[66:67]
	v_add_f64 v[28:29], v[28:29], v[40:41]
	v_mul_f64 v[46:47], v[119:120], s[36:37]
	v_fma_f64 v[56:57], v[133:134], s[12:13], v[56:57]
	v_add_f64 v[40:41], v[32:33], v[115:116]
	v_fma_f64 v[64:65], v[133:134], s[20:21], -v[44:45]
	v_mul_f64 v[66:67], v[106:107], s[48:49]
	v_mul_f64 v[115:116], v[119:120], s[48:49]
	v_add_f64 v[30:31], v[30:31], v[42:43]
	v_add_f64 v[42:43], v[34:35], v[117:118]
	v_fma_f64 v[34:35], v[125:126], s[12:13], -v[123:124]
	v_fma_f64 v[117:118], v[125:126], s[20:21], v[46:47]
	v_add_f64 v[32:33], v[56:57], v[48:49]
	v_fma_f64 v[44:45], v[133:134], s[20:21], v[44:45]
	v_fma_f64 v[46:47], v[125:126], s[20:21], -v[46:47]
	v_add_f64 v[48:49], v[64:65], v[52:53]
	v_fma_f64 v[52:53], v[133:134], s[16:17], -v[66:67]
	v_fma_f64 v[56:57], v[125:126], s[16:17], v[115:116]
	v_add_f64 v[34:35], v[34:35], v[50:51]
	v_add_f64 v[50:51], v[117:118], v[54:55]
	v_mul_f64 v[64:65], v[106:107], s[26:27]
	v_add_f64 v[44:45], v[44:45], v[58:59]
	v_add_f64 v[46:47], v[46:47], v[60:61]
	v_fma_f64 v[58:59], v[133:134], s[16:17], v[66:67]
	v_mul_f64 v[60:61], v[119:120], s[26:27]
	v_add_f64 v[52:53], v[52:53], v[62:63]
	v_add_f64 v[54:55], v[56:57], v[70:71]
	v_fma_f64 v[62:63], v[125:126], s[16:17], -v[115:116]
	v_mul_f64 v[70:71], v[106:107], s[40:41]
	v_mul_f64 v[106:107], v[119:120], s[40:41]
	v_fma_f64 v[66:67], v[133:134], s[22:23], -v[64:65]
	v_add_f64 v[56:57], v[58:59], v[100:101]
	v_fma_f64 v[100:101], v[125:126], s[22:23], v[60:61]
	v_add_f64 v[191:192], v[6:7], -v[98:99]
	v_add_f64 v[183:184], v[4:5], -v[96:97]
	v_add_f64 v[58:59], v[62:63], v[109:110]
	v_fma_f64 v[64:65], v[133:134], s[22:23], v[64:65]
	v_fma_f64 v[109:110], v[125:126], s[18:19], v[106:107]
	v_fma_f64 v[115:116], v[125:126], s[22:23], -v[60:61]
	v_add_f64 v[60:61], v[66:67], v[68:69]
	v_fma_f64 v[68:69], v[133:134], s[18:19], -v[70:71]
	v_fma_f64 v[117:118], v[133:134], s[18:19], v[70:71]
	v_add_f64 v[62:63], v[100:101], v[102:103]
	v_fma_f64 v[100:101], v[125:126], s[18:19], -v[106:107]
	v_mul_f64 v[102:103], v[191:192], s[34:35]
	v_add_f64 v[70:71], v[109:110], v[127:128]
	v_mul_f64 v[106:107], v[183:184], s[34:35]
	v_mul_f64 v[109:110], v[191:192], s[28:29]
	v_add_f64 v[197:198], v[10:11], -v[94:95]
	v_add_f64 v[64:65], v[64:65], v[111:112]
	v_add_f64 v[66:67], v[115:116], v[113:114]
	;; [unrolled: 1-line block ×3, first 2 shown]
	v_mul_f64 v[113:114], v[183:184], s[28:29]
	v_mul_f64 v[111:112], v[191:192], s[30:31]
	buffer_store_dword v102, off, s[52:55], 0 offset:300 ; 4-byte Folded Spill
	s_nop 0
	buffer_store_dword v103, off, s[52:55], 0 offset:304 ; 4-byte Folded Spill
	buffer_store_dword v106, off, s[52:55], 0 offset:316 ; 4-byte Folded Spill
	s_nop 0
	buffer_store_dword v107, off, s[52:55], 0 offset:320 ; 4-byte Folded Spill
	buffer_store_dword v109, off, s[52:55], 0 offset:332 ; 4-byte Folded Spill
	s_nop 0
	buffer_store_dword v110, off, s[52:55], 0 offset:336 ; 4-byte Folded Spill
	v_mul_f64 v[117:118], v[197:198], s[28:29]
	buffer_store_dword v113, off, s[52:55], 0 offset:452 ; 4-byte Folded Spill
	s_nop 0
	buffer_store_dword v114, off, s[52:55], 0 offset:456 ; 4-byte Folded Spill
	buffer_store_dword v111, off, s[52:55], 0 offset:356 ; 4-byte Folded Spill
	s_nop 0
	buffer_store_dword v112, off, s[52:55], 0 offset:360 ; 4-byte Folded Spill
	;; [unrolled: 3-line block ×3, first 2 shown]
	v_add_f64 v[163:164], v[4:5], v[96:97]
	v_add_f64 v[165:166], v[6:7], v[98:99]
	;; [unrolled: 1-line block ×4, first 2 shown]
	v_add_f64 v[189:190], v[8:9], -v[92:93]
	v_add_f64 v[171:172], v[10:11], v[94:95]
	v_mul_f64 v[119:120], v[197:198], s[26:27]
	v_add_f64 v[209:210], v[14:15], -v[90:91]
	v_mul_f64 v[125:126], v[197:198], s[38:39]
	v_add_f64 v[205:206], v[12:13], -v[88:89]
	v_add_f64 v[161:162], v[12:13], v[88:89]
	v_add_f64 v[173:174], v[14:15], v[90:91]
	v_mul_f64 v[123:124], v[189:190], s[26:27]
	v_add_f64 v[207:208], v[16:17], -v[84:85]
	v_add_f64 v[68:69], v[68:69], v[121:122]
	v_mul_f64 v[121:122], v[183:184], s[30:31]
	v_mul_f64 v[143:144], v[189:190], s[38:39]
	v_add_f64 v[219:220], v[18:19], -v[86:87]
	v_add_f64 v[169:170], v[18:19], v[86:87]
	v_add_f64 v[211:212], v[20:21], -v[80:81]
	v_add_f64 v[167:168], v[16:17], v[84:85]
	;; [unrolled: 2-line block ×3, first 2 shown]
	v_add_f64 v[175:176], v[20:21], v[80:81]
	v_fma_f64 v[127:128], v[171:172], s[24:25], -v[143:144]
	v_add_f64 v[241:242], v[74:75], -v[78:79]
	v_add_f64 v[231:232], v[72:73], -v[76:77]
	v_add_f64 v[181:182], v[74:75], v[78:79]
	v_mul_f64 v[151:152], v[191:192], s[26:27]
	v_mul_f64 v[157:158], v[183:184], s[26:27]
	v_mul_f64 v[235:236], v[191:192], s[36:37]
	v_mul_f64 v[233:234], v[197:198], s[40:41]
	v_mul_f64 v[249:250], v[183:184], s[36:37]
	v_mul_f64 v[247:248], v[189:190], s[40:41]
	v_mul_f64 v[245:246], v[205:206], s[28:29]
	v_mul_f64 v[243:244], v[207:208], s[50:51]
	v_mul_f64 v[239:240], v[211:212], s[44:45]
	s_movk_i32 s33, 0x5b
	v_fma_f64 v[223:224], v[171:172], s[18:19], -v[247:248]
	v_fma_f64 v[100:101], v[163:164], s[12:13], v[102:103]
	v_fma_f64 v[102:103], v[165:166], s[12:13], -v[106:107]
	v_fma_f64 v[106:107], v[163:164], s[16:17], v[109:110]
	;; [unrolled: 2-line block ×3, first 2 shown]
	v_add_f64 v[100:101], v[0:1], v[100:101]
	v_add_f64 v[102:103], v[2:3], v[102:103]
	;; [unrolled: 1-line block ×3, first 2 shown]
	v_fma_f64 v[106:107], v[159:160], s[16:17], v[117:118]
	v_mul_f64 v[117:118], v[189:190], s[28:29]
	buffer_store_dword v117, off, s[52:55], 0 offset:372 ; 4-byte Folded Spill
	s_nop 0
	buffer_store_dword v118, off, s[52:55], 0 offset:376 ; 4-byte Folded Spill
	v_add_f64 v[100:101], v[106:107], v[100:101]
	buffer_store_dword v119, off, s[52:55], 0 offset:388 ; 4-byte Folded Spill
	s_nop 0
	buffer_store_dword v120, off, s[52:55], 0 offset:392 ; 4-byte Folded Spill
	buffer_store_dword v123, off, s[52:55], 0 offset:420 ; 4-byte Folded Spill
	s_nop 0
	buffer_store_dword v124, off, s[52:55], 0 offset:424 ; 4-byte Folded Spill
	v_mul_f64 v[106:107], v[209:210], s[30:31]
	buffer_store_dword v125, off, s[52:55], 0 offset:484 ; 4-byte Folded Spill
	s_nop 0
	buffer_store_dword v126, off, s[52:55], 0 offset:488 ; 4-byte Folded Spill
	buffer_store_dword v106, off, s[52:55], 0 offset:404 ; 4-byte Folded Spill
	s_nop 0
	buffer_store_dword v107, off, s[52:55], 0 offset:408 ; 4-byte Folded Spill
	v_add_f64 v[109:110], v[2:3], v[109:110]
	v_fma_f64 v[113:114], v[165:166], s[18:19], -v[121:122]
	v_add_f64 v[111:112], v[0:1], v[111:112]
	v_add_f64 v[113:114], v[2:3], v[113:114]
	;; [unrolled: 1-line block ×3, first 2 shown]
	v_mul_f64 v[113:114], v[205:206], s[38:39]
	v_fma_f64 v[135:136], v[173:174], s[24:25], -v[113:114]
	v_fma_f64 v[117:118], v[171:172], s[16:17], -v[117:118]
	v_fma_f64 v[119:120], v[159:160], s[22:23], v[119:120]
	v_fma_f64 v[123:124], v[171:172], s[22:23], -v[123:124]
	v_fma_f64 v[125:126], v[159:160], s[24:25], v[125:126]
	v_add_f64 v[117:118], v[117:118], v[102:103]
	v_mul_f64 v[102:103], v[205:206], s[30:31]
	buffer_store_dword v102, off, s[52:55], 0 offset:436 ; 4-byte Folded Spill
	s_nop 0
	buffer_store_dword v103, off, s[52:55], 0 offset:440 ; 4-byte Folded Spill
	v_add_f64 v[123:124], v[123:124], v[109:110]
	v_fma_f64 v[109:110], v[161:162], s[18:19], v[106:107]
	v_mul_f64 v[106:107], v[209:210], s[38:39]
	buffer_store_dword v106, off, s[52:55], 0 offset:468 ; 4-byte Folded Spill
	s_nop 0
	buffer_store_dword v107, off, s[52:55], 0 offset:472 ; 4-byte Folded Spill
	v_add_f64 v[129:130], v[119:120], v[115:116]
	v_mul_f64 v[115:116], v[209:210], s[46:47]
	v_add_f64 v[125:126], v[125:126], v[111:112]
	v_mul_f64 v[119:120], v[205:206], s[46:47]
	v_add_f64 v[100:101], v[109:110], v[100:101]
	v_add_f64 v[135:136], v[135:136], v[123:124]
	v_mul_f64 v[123:124], v[225:226], s[36:37]
	v_fma_f64 v[137:138], v[161:162], s[22:23], v[115:116]
	v_fma_f64 v[139:140], v[173:174], s[22:23], -v[119:120]
	v_add_f64 v[137:138], v[137:138], v[125:126]
	v_mul_f64 v[125:126], v[211:212], s[36:37]
	v_add_f64 v[145:146], v[139:140], v[127:128]
	v_mul_f64 v[139:140], v[207:208], s[44:45]
	v_fma_f64 v[179:180], v[177:178], s[20:21], -v[125:126]
	v_fma_f64 v[131:132], v[173:174], s[18:19], -v[102:103]
	v_mul_f64 v[102:103], v[207:208], s[26:27]
	buffer_store_dword v102, off, s[52:55], 0 offset:500 ; 4-byte Folded Spill
	s_nop 0
	buffer_store_dword v103, off, s[52:55], 0 offset:504 ; 4-byte Folded Spill
	v_add_f64 v[141:142], v[131:132], v[117:118]
	v_fma_f64 v[133:134], v[161:162], s[24:25], v[106:107]
	v_mul_f64 v[106:107], v[219:220], s[26:27]
	v_mul_f64 v[117:118], v[219:220], s[42:43]
	;; [unrolled: 1-line block ×3, first 2 shown]
	v_add_f64 v[133:134], v[133:134], v[129:130]
	v_mul_f64 v[129:130], v[219:220], s[44:45]
	v_fma_f64 v[127:128], v[167:168], s[22:23], v[106:107]
	v_fma_f64 v[149:150], v[167:168], s[20:21], v[117:118]
	v_fma_f64 v[153:154], v[169:170], s[20:21], -v[131:132]
	v_fma_f64 v[155:156], v[167:168], s[12:13], v[129:130]
	v_add_f64 v[100:101], v[127:128], v[100:101]
	v_add_f64 v[185:186], v[149:150], v[133:134]
	v_fma_f64 v[149:150], v[175:176], s[20:21], v[123:124]
	v_add_f64 v[153:154], v[153:154], v[135:136]
	v_mul_f64 v[127:128], v[225:226], s[40:41]
	v_mul_f64 v[135:136], v[211:212], s[40:41]
	;; [unrolled: 1-line block ×3, first 2 shown]
	v_add_f64 v[155:156], v[155:156], v[137:138]
	v_mul_f64 v[137:138], v[241:242], s[38:39]
	v_add_f64 v[100:101], v[149:150], v[100:101]
	v_mul_f64 v[149:150], v[231:232], s[44:45]
	v_fma_f64 v[195:196], v[175:176], s[18:19], v[127:128]
	v_fma_f64 v[199:200], v[177:178], s[18:19], -v[135:136]
	v_fma_f64 v[201:202], v[175:176], s[16:17], v[133:134]
	v_fma_f64 v[217:218], v[181:182], s[12:13], -v[149:150]
	v_add_f64 v[185:186], v[195:196], v[185:186]
	v_add_f64 v[195:196], v[199:200], v[153:154]
	;; [unrolled: 1-line block ×3, first 2 shown]
	v_mul_f64 v[153:154], v[241:242], s[36:37]
	v_mul_f64 v[155:156], v[231:232], s[36:37]
	v_fma_f64 v[147:148], v[169:170], s[22:23], -v[102:103]
	v_add_f64 v[141:142], v[147:148], v[141:142]
	v_fma_f64 v[147:148], v[169:170], s[12:13], -v[139:140]
	v_add_f64 v[193:194], v[179:180], v[141:142]
	v_add_f64 v[179:180], v[72:73], v[76:77]
	v_mul_f64 v[141:142], v[231:232], s[38:39]
	v_add_f64 v[187:188], v[147:148], v[145:146]
	v_mul_f64 v[145:146], v[241:242], s[44:45]
	v_mul_f64 v[147:148], v[211:212], s[28:29]
	v_fma_f64 v[203:204], v[179:180], s[24:25], v[137:138]
	v_fma_f64 v[213:214], v[181:182], s[24:25], -v[141:142]
	v_fma_f64 v[215:216], v[179:180], s[12:13], v[145:146]
	v_fma_f64 v[199:200], v[177:178], s[16:17], -v[147:148]
	v_add_f64 v[100:101], v[203:204], v[100:101]
	v_add_f64 v[102:103], v[213:214], v[193:194]
	buffer_store_dword v100, off, s[52:55], 0 offset:4 ; 4-byte Folded Spill
	s_nop 0
	buffer_store_dword v101, off, s[52:55], 0 offset:8 ; 4-byte Folded Spill
	buffer_store_dword v102, off, s[52:55], 0 offset:12 ; 4-byte Folded Spill
	;; [unrolled: 1-line block ×3, first 2 shown]
	v_add_f64 v[100:101], v[215:216], v[185:186]
	v_add_f64 v[102:103], v[217:218], v[195:196]
	buffer_store_dword v100, off, s[52:55], 0 offset:20 ; 4-byte Folded Spill
	s_nop 0
	buffer_store_dword v101, off, s[52:55], 0 offset:24 ; 4-byte Folded Spill
	buffer_store_dword v102, off, s[52:55], 0 offset:28 ; 4-byte Folded Spill
	;; [unrolled: 1-line block ×3, first 2 shown]
	v_add_f64 v[187:188], v[199:200], v[187:188]
	v_fma_f64 v[100:101], v[179:180], s[20:21], v[153:154]
	v_fma_f64 v[185:186], v[181:182], s[20:21], -v[155:156]
	v_fma_f64 v[199:200], v[163:164], s[22:23], v[151:152]
	v_mul_f64 v[195:196], v[197:198], s[42:43]
	v_mul_f64 v[217:218], v[189:190], s[42:43]
	;; [unrolled: 1-line block ×5, first 2 shown]
	v_add_f64 v[100:101], v[100:101], v[201:202]
	v_add_f64 v[102:103], v[185:186], v[187:188]
	;; [unrolled: 1-line block ×3, first 2 shown]
	v_fma_f64 v[199:200], v[165:166], s[22:23], -v[157:158]
	buffer_store_dword v100, off, s[52:55], 0 offset:36 ; 4-byte Folded Spill
	s_nop 0
	buffer_store_dword v101, off, s[52:55], 0 offset:40 ; 4-byte Folded Spill
	buffer_store_dword v102, off, s[52:55], 0 offset:44 ; 4-byte Folded Spill
	;; [unrolled: 1-line block ×3, first 2 shown]
	v_fma_f64 v[100:101], v[159:160], s[20:21], v[195:196]
	v_add_f64 v[185:186], v[2:3], v[199:200]
	v_fma_f64 v[187:188], v[171:172], s[20:21], -v[217:218]
	v_mul_f64 v[199:200], v[209:210], s[44:45]
	v_add_f64 v[100:101], v[100:101], v[193:194]
	v_mul_f64 v[193:194], v[219:220], s[30:31]
	v_add_f64 v[185:186], v[187:188], v[185:186]
	v_fma_f64 v[187:188], v[161:162], s[12:13], v[199:200]
	v_add_f64 v[100:101], v[187:188], v[100:101]
	v_fma_f64 v[187:188], v[173:174], s[12:13], -v[215:216]
	v_add_f64 v[185:186], v[187:188], v[185:186]
	v_fma_f64 v[187:188], v[167:168], s[18:19], v[193:194]
	v_add_f64 v[100:101], v[187:188], v[100:101]
	v_fma_f64 v[187:188], v[169:170], s[18:19], -v[213:214]
	v_add_f64 v[185:186], v[187:188], v[185:186]
	v_mul_f64 v[187:188], v[225:226], s[50:51]
	v_fma_f64 v[201:202], v[175:176], s[24:25], v[187:188]
	v_add_f64 v[100:101], v[201:202], v[100:101]
	v_fma_f64 v[201:202], v[177:178], s[24:25], -v[203:204]
	v_add_f64 v[221:222], v[201:202], v[185:186]
	v_mul_f64 v[185:186], v[241:242], s[48:49]
	v_fma_f64 v[201:202], v[179:180], s[16:17], v[185:186]
	v_add_f64 v[227:228], v[201:202], v[100:101]
	v_mul_f64 v[201:202], v[231:232], s[48:49]
	v_fma_f64 v[100:101], v[181:182], s[16:17], -v[201:202]
	v_add_f64 v[229:230], v[100:101], v[221:222]
	v_fma_f64 v[100:101], v[163:164], s[20:21], v[235:236]
	v_fma_f64 v[221:222], v[159:160], s[18:19], v[233:234]
	buffer_store_dword v227, off, s[52:55], 0 offset:52 ; 4-byte Folded Spill
	s_nop 0
	buffer_store_dword v228, off, s[52:55], 0 offset:56 ; 4-byte Folded Spill
	buffer_store_dword v229, off, s[52:55], 0 offset:60 ; 4-byte Folded Spill
	;; [unrolled: 1-line block ×3, first 2 shown]
	v_add_f64 v[100:101], v[0:1], v[100:101]
	v_mul_f64 v[229:230], v[209:210], s[28:29]
	v_add_f64 v[100:101], v[221:222], v[100:101]
	v_fma_f64 v[221:222], v[165:166], s[20:21], -v[249:250]
	v_add_f64 v[221:222], v[2:3], v[221:222]
	v_add_f64 v[221:222], v[223:224], v[221:222]
	v_fma_f64 v[223:224], v[161:162], s[16:17], v[229:230]
	v_add_f64 v[100:101], v[223:224], v[100:101]
	v_fma_f64 v[223:224], v[173:174], s[16:17], -v[245:246]
	v_add_f64 v[221:222], v[223:224], v[221:222]
	v_mul_f64 v[223:224], v[219:220], s[50:51]
	v_fma_f64 v[227:228], v[167:168], s[24:25], v[223:224]
	v_add_f64 v[100:101], v[227:228], v[100:101]
	v_fma_f64 v[227:228], v[169:170], s[24:25], -v[243:244]
	v_add_f64 v[227:228], v[227:228], v[221:222]
	v_mul_f64 v[221:222], v[225:226], s[44:45]
	;; [unrolled: 5-line block ×3, first 2 shown]
	v_fma_f64 v[237:238], v[179:180], s[22:23], v[227:228]
	v_add_f64 v[109:110], v[237:238], v[100:101]
	v_mul_f64 v[237:238], v[231:232], s[26:27]
	v_fma_f64 v[100:101], v[181:182], s[22:23], -v[237:238]
	v_add_f64 v[111:112], v[100:101], v[102:103]
	buffer_store_dword v109, off, s[52:55], 0 offset:68 ; 4-byte Folded Spill
	s_nop 0
	buffer_store_dword v110, off, s[52:55], 0 offset:72 ; 4-byte Folded Spill
	buffer_store_dword v111, off, s[52:55], 0 offset:76 ; 4-byte Folded Spill
	;; [unrolled: 1-line block ×3, first 2 shown]
	s_waitcnt vmcnt(0)
	s_barrier
	buffer_load_dword v101, off, s[52:55], 0 ; 4-byte Folded Reload
	s_waitcnt vmcnt(0)
	v_mul_lo_u16_e32 v100, 13, v101
	v_lshlrev_b32_e32 v100, 4, v100
	ds_write_b128 v100, v[24:27]
	ds_write_b128 v100, v[36:39] offset:16
	ds_write_b128 v100, v[40:43] offset:32
	ds_write_b128 v100, v[48:51] offset:48
	ds_write_b128 v100, v[52:55] offset:64
	ds_write_b128 v100, v[60:63] offset:80
	ds_write_b128 v100, v[68:71] offset:96
	ds_write_b128 v100, v[251:254] offset:112
	ds_write_b128 v100, v[64:67] offset:128
	ds_write_b128 v100, v[56:59] offset:144
	ds_write_b128 v100, v[44:47] offset:160
	v_add_co_u32_e64 v253, s[2:3], s33, v101
	v_mul_u32_u24_e32 v24, 13, v253
	ds_write_b128 v100, v[32:35] offset:176
	ds_write_b128 v100, v[28:31] offset:192
	buffer_store_dword v24, off, s[52:55], 0 offset:596 ; 4-byte Folded Spill
	s_and_saveexec_b64 s[2:3], vcc
	s_cbranch_execz .LBB0_7
; %bb.6:
	v_mul_f64 v[28:29], v[165:166], s[24:25]
	v_mul_f64 v[30:31], v[171:172], s[12:13]
	v_mul_f64 v[32:33], v[191:192], s[38:39]
	v_mul_f64 v[34:35], v[197:198], s[44:45]
	v_mul_f64 v[56:57], v[171:172], s[18:19]
	v_mul_f64 v[52:53], v[181:182], s[18:19]
	v_mul_f64 v[50:51], v[241:242], s[40:41]
	v_mul_f64 v[64:65], v[163:164], s[20:21]
	v_fma_f64 v[24:25], v[183:184], s[50:51], v[28:29]
	v_fma_f64 v[26:27], v[189:190], s[34:35], v[30:31]
	;; [unrolled: 1-line block ×5, first 2 shown]
	v_fma_f64 v[32:33], v[163:164], s[24:25], -v[32:33]
	v_add_f64 v[56:57], v[247:248], v[56:57]
	v_mul_f64 v[66:67], v[169:170], s[24:25]
	v_add_f64 v[24:25], v[2:3], v[24:25]
	v_add_f64 v[64:65], v[64:65], -v[235:236]
	v_add_f64 v[36:37], v[0:1], v[36:37]
	v_add_f64 v[28:29], v[2:3], v[28:29]
	v_mul_f64 v[189:190], v[175:176], s[12:13]
	v_add_f64 v[32:33], v[0:1], v[32:33]
	v_mul_f64 v[68:69], v[159:160], s[22:23]
	v_add_f64 v[66:67], v[243:244], v[66:67]
	v_add_f64 v[24:25], v[26:27], v[24:25]
	v_fma_f64 v[26:27], v[159:160], s[12:13], v[34:35]
	v_fma_f64 v[34:35], v[159:160], s[12:13], -v[34:35]
	v_add_f64 v[28:29], v[30:31], v[28:29]
	v_mul_f64 v[30:31], v[165:166], s[20:21]
	v_add_f64 v[64:65], v[0:1], v[64:65]
	v_mul_f64 v[70:71], v[159:160], s[24:25]
	v_mul_f64 v[101:102], v[181:182], s[22:23]
	v_add_f64 v[189:190], v[189:190], -v[221:222]
	v_add_f64 v[26:27], v[26:27], v[36:37]
	v_mul_f64 v[36:37], v[173:174], s[20:21]
	v_add_f64 v[32:33], v[34:35], v[32:33]
	v_add_f64 v[30:31], v[249:250], v[30:31]
	v_mul_f64 v[62:63], v[165:166], s[22:23]
	v_mul_f64 v[54:55], v[165:166], s[12:13]
	v_add_f64 v[101:102], v[237:238], v[101:102]
	v_mul_f64 v[58:59], v[165:166], s[16:17]
	v_mul_f64 v[60:61], v[165:166], s[18:19]
	v_fma_f64 v[38:39], v[205:206], s[42:43], v[36:37]
	v_fma_f64 v[36:37], v[205:206], s[36:37], v[36:37]
	v_add_f64 v[30:31], v[2:3], v[30:31]
	v_mul_f64 v[165:166], v[171:172], s[20:21]
	v_add_f64 v[62:63], v[157:158], v[62:63]
	v_mul_f64 v[205:206], v[169:170], s[18:19]
	v_add_f64 v[6:7], v[2:3], v[6:7]
	v_add_f64 v[60:61], v[121:122], v[60:61]
	;; [unrolled: 1-line block ×3, first 2 shown]
	v_mul_f64 v[38:39], v[209:210], s[36:37]
	v_add_f64 v[28:29], v[36:37], v[28:29]
	v_add_f64 v[30:31], v[56:57], v[30:31]
	v_mul_f64 v[36:37], v[163:164], s[16:17]
	v_mul_f64 v[56:57], v[159:160], s[16:17]
	v_add_f64 v[165:166], v[217:218], v[165:166]
	v_add_f64 v[62:63], v[2:3], v[62:63]
	;; [unrolled: 1-line block ×3, first 2 shown]
	v_fma_f64 v[40:41], v[161:162], s[20:21], v[38:39]
	v_fma_f64 v[34:35], v[161:162], s[20:21], -v[38:39]
	v_add_f64 v[60:61], v[2:3], v[60:61]
	v_add_f64 v[6:7], v[6:7], v[10:11]
	v_mul_f64 v[183:184], v[161:162], s[18:19]
	v_mul_f64 v[157:158], v[161:162], s[24:25]
	v_add_f64 v[62:63], v[165:166], v[62:63]
	v_mul_f64 v[197:198], v[161:162], s[22:23]
	v_add_f64 v[26:27], v[40:41], v[26:27]
	;; [unrolled: 2-line block ×3, first 2 shown]
	v_mul_f64 v[34:35], v[163:164], s[22:23]
	v_mul_f64 v[191:192], v[173:174], s[24:25]
	;; [unrolled: 1-line block ×5, first 2 shown]
	v_add_f64 v[4:5], v[0:1], v[4:5]
	v_fma_f64 v[42:43], v[207:208], s[28:29], v[40:41]
	v_fma_f64 v[40:41], v[207:208], s[48:49], v[40:41]
	v_add_f64 v[34:35], v[34:35], -v[151:152]
	v_mul_f64 v[207:208], v[167:168], s[22:23]
	v_mul_f64 v[151:152], v[167:168], s[12:13]
	v_add_f64 v[6:7], v[6:7], v[14:15]
	v_add_f64 v[14:15], v[197:198], -v[115:116]
	v_add_f64 v[4:5], v[4:5], v[8:9]
	v_add_f64 v[24:25], v[42:43], v[24:25]
	v_mul_f64 v[42:43], v[219:220], s[48:49]
	v_add_f64 v[28:29], v[40:41], v[28:29]
	v_mul_f64 v[40:41], v[173:174], s[16:17]
	v_add_f64 v[34:35], v[0:1], v[34:35]
	v_add_f64 v[8:9], v[139:140], v[169:170]
	;; [unrolled: 1-line block ×4, first 2 shown]
	v_add_f64 v[18:19], v[151:152], -v[129:130]
	v_fma_f64 v[44:45], v[167:168], s[16:17], v[42:43]
	v_fma_f64 v[42:43], v[167:168], s[16:17], -v[42:43]
	v_add_f64 v[40:41], v[245:246], v[40:41]
	v_mul_f64 v[213:214], v[181:182], s[12:13]
	v_mul_f64 v[121:122], v[179:180], s[20:21]
	v_add_f64 v[6:7], v[6:7], v[22:23]
	v_add_f64 v[4:5], v[4:5], v[16:17]
	;; [unrolled: 1-line block ×3, first 2 shown]
	v_mul_f64 v[44:45], v[177:178], s[22:23]
	v_add_f64 v[30:31], v[40:41], v[30:31]
	v_mul_f64 v[40:41], v[159:160], s[18:19]
	v_mul_f64 v[159:160], v[159:160], s[20:21]
	v_add_f64 v[32:33], v[42:43], v[32:33]
	v_mul_f64 v[42:43], v[171:172], s[16:17]
	v_add_f64 v[4:5], v[4:5], v[20:21]
	v_add_f64 v[6:7], v[6:7], v[74:75]
	v_fma_f64 v[46:47], v[211:212], s[46:47], v[44:45]
	v_fma_f64 v[38:39], v[211:212], s[26:27], v[44:45]
	v_mul_f64 v[44:45], v[163:164], s[18:19]
	v_add_f64 v[30:31], v[66:67], v[30:31]
	v_add_f64 v[40:41], v[40:41], -v[233:234]
	v_mul_f64 v[66:67], v[171:172], s[24:25]
	v_mul_f64 v[211:212], v[175:176], s[20:21]
	v_add_f64 v[4:5], v[4:5], v[72:73]
	v_add_f64 v[24:25], v[46:47], v[24:25]
	v_mul_f64 v[46:47], v[225:226], s[26:27]
	v_add_f64 v[28:29], v[38:39], v[28:29]
	v_mul_f64 v[38:39], v[177:178], s[12:13]
	;; [unrolled: 2-line block ×3, first 2 shown]
	v_add_f64 v[6:7], v[6:7], v[78:79]
	v_add_f64 v[4:5], v[4:5], v[76:77]
	v_add_f64 v[20:21], v[121:122], -v[153:154]
	v_fma_f64 v[48:49], v[175:176], s[22:23], v[46:47]
	v_fma_f64 v[46:47], v[175:176], s[22:23], -v[46:47]
	v_add_f64 v[38:39], v[239:240], v[38:39]
	v_add_f64 v[6:7], v[6:7], v[82:83]
	;; [unrolled: 1-line block ×4, first 2 shown]
	v_fma_f64 v[26:27], v[231:232], s[30:31], v[52:53]
	v_add_f64 v[38:39], v[38:39], v[30:31]
	v_mul_f64 v[30:31], v[167:168], s[24:25]
	v_add_f64 v[46:47], v[46:47], v[32:33]
	v_mul_f64 v[32:33], v[171:172], s[22:23]
	v_add_f64 v[6:7], v[6:7], v[86:87]
	v_add_f64 v[4:5], v[4:5], v[84:85]
	v_mul_f64 v[171:172], v[179:180], s[22:23]
	v_add_f64 v[26:27], v[26:27], v[24:25]
	v_fma_f64 v[24:25], v[179:180], s[18:19], v[50:51]
	v_add_f64 v[30:31], v[30:31], -v[223:224]
	v_fma_f64 v[50:51], v[179:180], s[18:19], -v[50:51]
	v_add_f64 v[6:7], v[6:7], v[90:91]
	v_add_f64 v[4:5], v[4:5], v[88:89]
	v_add_f64 v[171:172], v[171:172], -v[227:228]
	v_add_f64 v[24:25], v[24:25], v[48:49]
	v_fma_f64 v[48:49], v[231:232], s[40:41], v[52:53]
	v_mul_f64 v[52:53], v[163:164], s[12:13]
	v_mul_f64 v[163:164], v[161:162], s[16:17]
	;; [unrolled: 1-line block ×3, first 2 shown]
	v_add_f64 v[4:5], v[4:5], v[92:93]
	v_add_f64 v[163:164], v[163:164], -v[229:230]
	v_add_f64 v[161:162], v[161:162], -v[199:200]
	v_mul_f64 v[199:200], v[177:178], s[18:19]
	v_add_f64 v[40:41], v[163:164], v[40:41]
	v_mul_f64 v[163:164], v[173:174], s[12:13]
	v_mul_f64 v[173:174], v[173:174], s[22:23]
	v_add_f64 v[30:31], v[30:31], v[40:41]
	v_add_f64 v[163:164], v[215:216], v[163:164]
	v_mul_f64 v[40:41], v[167:168], s[20:21]
	v_mul_f64 v[167:168], v[167:168], s[18:19]
	v_add_f64 v[189:190], v[189:190], v[30:31]
	v_add_f64 v[30:31], v[159:160], -v[195:196]
	v_add_f64 v[62:63], v[163:164], v[62:63]
	v_mul_f64 v[163:164], v[177:178], s[24:25]
	v_mul_f64 v[195:196], v[181:182], s[16:17]
	v_add_f64 v[167:168], v[167:168], -v[193:194]
	v_mul_f64 v[159:160], v[177:178], s[20:21]
	v_mul_f64 v[177:178], v[177:178], s[16:17]
	v_mul_f64 v[193:194], v[179:180], s[12:13]
	v_add_f64 v[30:31], v[30:31], v[34:35]
	v_add_f64 v[34:35], v[101:102], v[38:39]
	buffer_load_dword v101, off, s[52:55], 0 offset:452 ; 4-byte Folded Reload
	buffer_load_dword v102, off, s[52:55], 0 offset:456 ; 4-byte Folded Reload
	v_add_f64 v[163:164], v[203:204], v[163:164]
	v_add_f64 v[62:63], v[205:206], v[62:63]
	;; [unrolled: 1-line block ×3, first 2 shown]
	v_mul_f64 v[203:204], v[175:176], s[18:19]
	v_mul_f64 v[205:206], v[175:176], s[16:17]
	;; [unrolled: 1-line block ×3, first 2 shown]
	v_add_f64 v[161:162], v[161:162], v[30:31]
	v_add_f64 v[30:31], v[48:49], v[28:29]
	;; [unrolled: 1-line block ×4, first 2 shown]
	v_mul_f64 v[201:202], v[179:180], s[24:25]
	v_mul_f64 v[163:164], v[181:182], s[24:25]
	;; [unrolled: 1-line block ×3, first 2 shown]
	v_add_f64 v[28:29], v[175:176], -v[187:188]
	v_add_f64 v[48:49], v[167:168], v[161:162]
	v_add_f64 v[22:23], v[205:206], -v[133:134]
	v_mul_f64 v[179:180], v[179:180], s[16:17]
	v_add_f64 v[38:39], v[195:196], v[62:63]
	v_add_f64 v[62:63], v[143:144], v[66:67]
	;; [unrolled: 1-line block ×5, first 2 shown]
	v_add_f64 v[66:67], v[179:180], -v[185:186]
	v_add_f64 v[60:61], v[62:63], v[60:61]
	v_add_f64 v[48:49], v[48:49], v[60:61]
	;; [unrolled: 1-line block ×6, first 2 shown]
	s_waitcnt vmcnt(0)
	v_add_f64 v[58:59], v[101:102], v[58:59]
	buffer_load_dword v101, off, s[52:55], 0 offset:356 ; 4-byte Folded Reload
	buffer_load_dword v102, off, s[52:55], 0 offset:360 ; 4-byte Folded Reload
	;; [unrolled: 1-line block ×6, first 2 shown]
	v_add_f64 v[58:59], v[2:3], v[58:59]
	s_waitcnt vmcnt(4)
	v_add_f64 v[44:45], v[44:45], -v[101:102]
	s_waitcnt vmcnt(2)
	v_add_f64 v[32:33], v[62:63], v[32:33]
	s_waitcnt vmcnt(0)
	v_add_f64 v[10:11], v[70:71], -v[10:11]
	v_add_f64 v[44:45], v[0:1], v[44:45]
	v_add_f64 v[32:33], v[32:33], v[58:59]
	;; [unrolled: 1-line block ×7, first 2 shown]
	buffer_load_dword v32, off, s[52:55], 0 offset:316 ; 4-byte Folded Reload
	buffer_load_dword v33, off, s[52:55], 0 offset:320 ; 4-byte Folded Reload
	v_add_f64 v[10:11], v[18:19], v[10:11]
	v_add_f64 v[18:19], v[149:150], v[213:214]
	;; [unrolled: 1-line block ×3, first 2 shown]
	buffer_load_dword v14, off, s[52:55], 0 offset:300 ; 4-byte Folded Reload
	buffer_load_dword v15, off, s[52:55], 0 offset:304 ; 4-byte Folded Reload
	;; [unrolled: 1-line block ×4, first 2 shown]
	v_add_f64 v[22:23], v[22:23], v[10:11]
	s_waitcnt vmcnt(4)
	v_add_f64 v[32:33], v[32:33], v[54:55]
	v_add_f64 v[2:3], v[2:3], v[32:33]
	s_waitcnt vmcnt(0)
	v_add_f64 v[36:37], v[36:37], -v[44:45]
	buffer_load_dword v44, off, s[52:55], 0 offset:388 ; 4-byte Folded Reload
	buffer_load_dword v45, off, s[52:55], 0 offset:392 ; 4-byte Folded Reload
	;; [unrolled: 1-line block ×6, first 2 shown]
	v_add_f64 v[14:15], v[52:53], -v[14:15]
	v_add_f64 v[52:53], v[6:7], v[94:95]
	v_add_f64 v[6:7], v[18:19], v[12:13]
	;; [unrolled: 1-line block ×5, first 2 shown]
	buffer_load_dword v36, off, s[52:55], 0 offset:468 ; 4-byte Folded Reload
	buffer_load_dword v37, off, s[52:55], 0 offset:472 ; 4-byte Folded Reload
	s_waitcnt vmcnt(6)
	v_add_f64 v[44:45], v[68:69], -v[44:45]
	s_waitcnt vmcnt(4)
	v_add_f64 v[42:43], v[48:49], v[42:43]
	s_waitcnt vmcnt(2)
	v_add_f64 v[32:33], v[56:57], -v[32:33]
	buffer_load_dword v48, off, s[52:55], 0 offset:436 ; 4-byte Folded Reload
	buffer_load_dword v49, off, s[52:55], 0 offset:440 ; 4-byte Folded Reload
	v_add_f64 v[0:1], v[44:45], v[0:1]
	v_add_f64 v[2:3], v[42:43], v[2:3]
	buffer_load_dword v42, off, s[52:55], 0 offset:404 ; 4-byte Folded Reload
	buffer_load_dword v43, off, s[52:55], 0 offset:408 ; 4-byte Folded Reload
	v_add_f64 v[14:15], v[32:33], v[14:15]
	v_add_f64 v[32:33], v[40:41], -v[117:118]
	buffer_load_dword v40, off, s[52:55], 0 offset:500 ; 4-byte Folded Reload
	buffer_load_dword v41, off, s[52:55], 0 offset:504 ; 4-byte Folded Reload
	s_waitcnt vmcnt(6)
	v_add_f64 v[36:37], v[157:158], -v[36:37]
	v_add_f64 v[44:45], v[207:208], -v[106:107]
	v_add_f64 v[0:1], v[36:37], v[0:1]
	v_add_f64 v[36:37], v[203:204], -v[127:128]
	v_add_f64 v[0:1], v[32:33], v[0:1]
	;; [unrolled: 2-line block ×3, first 2 shown]
	v_add_f64 v[36:37], v[66:67], v[28:29]
	v_add_f64 v[28:29], v[50:51], v[46:47]
	;; [unrolled: 1-line block ×5, first 2 shown]
	s_waitcnt vmcnt(4)
	v_add_f64 v[48:49], v[48:49], v[64:65]
	s_waitcnt vmcnt(2)
	v_add_f64 v[42:43], v[183:184], -v[42:43]
	v_add_f64 v[2:3], v[48:49], v[2:3]
	v_add_f64 v[48:49], v[201:202], -v[137:138]
	s_waitcnt vmcnt(0)
	v_add_f64 v[40:41], v[40:41], v[165:166]
	v_add_f64 v[14:15], v[42:43], v[14:15]
	;; [unrolled: 1-line block ×4, first 2 shown]
	v_add_f64 v[40:41], v[211:212], -v[123:124]
	v_add_f64 v[14:15], v[44:45], v[14:15]
	v_add_f64 v[44:45], v[141:142], v[163:164]
	;; [unrolled: 1-line block ×4, first 2 shown]
	v_mul_u32_u24_e32 v16, 13, v253
	v_lshlrev_b32_e32 v16, 4, v16
	v_add_f64 v[40:41], v[40:41], v[14:15]
	v_add_f64 v[14:15], v[52:53], v[98:99]
	;; [unrolled: 1-line block ×4, first 2 shown]
	ds_write_b128 v16, v[12:15]
	ds_write_b128 v16, v[8:11] offset:16
	ds_write_b128 v16, v[4:7] offset:32
	;; [unrolled: 1-line block ×7, first 2 shown]
	buffer_load_dword v0, off, s[52:55], 0 offset:68 ; 4-byte Folded Reload
	buffer_load_dword v1, off, s[52:55], 0 offset:72 ; 4-byte Folded Reload
	buffer_load_dword v2, off, s[52:55], 0 offset:76 ; 4-byte Folded Reload
	buffer_load_dword v3, off, s[52:55], 0 offset:80 ; 4-byte Folded Reload
	s_waitcnt vmcnt(0)
	ds_write_b128 v16, v[0:3] offset:128
	buffer_load_dword v0, off, s[52:55], 0 offset:52 ; 4-byte Folded Reload
	buffer_load_dword v1, off, s[52:55], 0 offset:56 ; 4-byte Folded Reload
	buffer_load_dword v2, off, s[52:55], 0 offset:60 ; 4-byte Folded Reload
	buffer_load_dword v3, off, s[52:55], 0 offset:64 ; 4-byte Folded Reload
	s_waitcnt vmcnt(0)
	ds_write_b128 v16, v[0:3] offset:144
	;; [unrolled: 6-line block ×5, first 2 shown]
.LBB0_7:
	s_or_b64 exec, exec, s[2:3]
	s_waitcnt vmcnt(0) lgkmcnt(0)
	s_barrier
	ds_read_b128 v[8:11], v108
	ds_read_b128 v[36:39], v108 offset:4368
	buffer_load_dword v103, off, s[52:55], 0 ; 4-byte Folded Reload
	v_mov_b32_e32 v0, s15
	v_addc_co_u32_e64 v106, s[0:1], 0, v0, s[0:1]
	s_movk_i32 s0, 0xb6
	ds_read_b128 v[40:43], v108 offset:8736
	ds_read_b128 v[44:47], v108 offset:13104
	;; [unrolled: 1-line block ×19, first 2 shown]
	s_mov_b32 s12, 0x37e14327
	s_mov_b32 s2, 0x36b3c0b5
	;; [unrolled: 1-line block ×20, first 2 shown]
	s_waitcnt vmcnt(0)
	v_add_co_u32_e64 v110, s[0:1], s0, v103
	s_movk_i32 s0, 0x4f
	v_mul_lo_u16_sdwa v60, v103, s0 dst_sel:DWORD dst_unused:UNUSED_PAD src0_sel:BYTE_0 src1_sel:DWORD
	v_lshrrev_b16_e32 v78, 10, v60
	v_mul_lo_u16_e32 v60, 13, v78
	v_sub_u16_e32 v60, v103, v60
	v_and_b32_e32 v79, 0xff, v60
	v_mul_u32_u24_e32 v60, 6, v79
	v_lshlrev_b32_e32 v80, 4, v60
	global_load_dwordx4 v[81:84], v80, s[4:5] offset:48
	global_load_dwordx4 v[72:75], v80, s[4:5] offset:32
	;; [unrolled: 1-line block ×3, first 2 shown]
	global_load_dwordx4 v[176:179], v80, s[4:5]
	v_lshlrev_b32_e32 v107, 5, v103
	s_waitcnt vmcnt(0) lgkmcnt(14)
	v_mul_f64 v[60:61], v[38:39], v[178:179]
	v_fma_f64 v[62:63], v[36:37], v[176:177], -v[60:61]
	v_mul_f64 v[36:37], v[36:37], v[178:179]
	v_fma_f64 v[68:69], v[38:39], v[176:177], v[36:37]
	v_mul_f64 v[36:37], v[42:43], v[174:175]
	v_fma_f64 v[64:65], v[40:41], v[172:173], -v[36:37]
	v_mul_f64 v[36:37], v[40:41], v[174:175]
	v_fma_f64 v[70:71], v[42:43], v[172:173], v[36:37]
	v_mul_f64 v[36:37], v[46:47], v[74:75]
	v_fma_f64 v[66:67], v[44:45], v[72:73], -v[36:37]
	v_mul_f64 v[36:37], v[44:45], v[74:75]
	buffer_store_dword v72, off, s[52:55], 0 offset:548 ; 4-byte Folded Spill
	s_nop 0
	buffer_store_dword v73, off, s[52:55], 0 offset:552 ; 4-byte Folded Spill
	buffer_store_dword v74, off, s[52:55], 0 offset:556 ; 4-byte Folded Spill
	;; [unrolled: 1-line block ×3, first 2 shown]
	v_fma_f64 v[72:73], v[46:47], v[72:73], v[36:37]
	v_mul_f64 v[36:37], v[50:51], v[83:84]
	v_fma_f64 v[74:75], v[48:49], v[81:82], -v[36:37]
	v_mul_f64 v[36:37], v[48:49], v[83:84]
	buffer_store_dword v81, off, s[52:55], 0 offset:564 ; 4-byte Folded Spill
	s_nop 0
	buffer_store_dword v82, off, s[52:55], 0 offset:568 ; 4-byte Folded Spill
	buffer_store_dword v83, off, s[52:55], 0 offset:572 ; 4-byte Folded Spill
	;; [unrolled: 1-line block ×3, first 2 shown]
	global_load_dwordx4 v[38:41], v80, s[4:5] offset:80
	global_load_dwordx4 v[184:187], v80, s[4:5] offset:64
	v_fma_f64 v[76:77], v[50:51], v[81:82], v[36:37]
	s_waitcnt vmcnt(0)
	v_mul_f64 v[36:37], v[54:55], v[186:187]
	v_fma_f64 v[80:81], v[52:53], v[184:185], -v[36:37]
	v_mul_f64 v[36:37], v[52:53], v[186:187]
	v_fma_f64 v[82:83], v[54:55], v[184:185], v[36:37]
	v_mul_f64 v[36:37], v[58:59], v[40:41]
	v_fma_f64 v[90:91], v[56:57], v[38:39], -v[36:37]
	v_mul_f64 v[36:37], v[56:57], v[40:41]
	buffer_store_dword v38, off, s[52:55], 0 offset:580 ; 4-byte Folded Spill
	s_nop 0
	buffer_store_dword v39, off, s[52:55], 0 offset:584 ; 4-byte Folded Spill
	buffer_store_dword v40, off, s[52:55], 0 offset:588 ; 4-byte Folded Spill
	;; [unrolled: 1-line block ×3, first 2 shown]
	v_fma_f64 v[92:93], v[58:59], v[38:39], v[36:37]
	v_mul_lo_u16_sdwa v36, v253, s0 dst_sel:DWORD dst_unused:UNUSED_PAD src0_sel:BYTE_0 src1_sel:DWORD
	v_lshrrev_b16_e32 v84, 10, v36
	v_mul_lo_u16_e32 v36, 13, v84
	v_sub_u16_e32 v36, v253, v36
	v_and_b32_e32 v85, 0xff, v36
	v_mul_u32_u24_e32 v36, 6, v85
	v_lshlrev_b32_e32 v52, 4, v36
	global_load_dwordx4 v[202:205], v52, s[4:5] offset:48
	global_load_dwordx4 v[136:139], v52, s[4:5] offset:32
	global_load_dwordx4 v[152:155], v52, s[4:5] offset:16
	global_load_dwordx4 v[216:219], v52, s[4:5]
	global_load_dwordx4 v[180:183], v52, s[4:5] offset:80
	global_load_dwordx4 v[212:215], v52, s[4:5] offset:64
	s_movk_i32 s0, 0x4ec5
	s_waitcnt vmcnt(5) lgkmcnt(9)
	v_mul_f64 v[48:49], v[126:127], v[204:205]
	s_waitcnt vmcnt(4)
	v_mul_f64 v[46:47], v[120:121], v[138:139]
	s_waitcnt vmcnt(3)
	;; [unrolled: 2-line block ×3, first 2 shown]
	v_mul_f64 v[38:39], v[86:87], v[218:219]
	s_waitcnt vmcnt(0) lgkmcnt(8)
	v_mul_f64 v[52:53], v[130:131], v[214:215]
	v_mul_f64 v[36:37], v[88:89], v[218:219]
	;; [unrolled: 1-line block ×3, first 2 shown]
	v_fma_f64 v[48:49], v[124:125], v[202:203], -v[48:49]
	v_fma_f64 v[46:47], v[122:123], v[136:137], v[46:47]
	v_fma_f64 v[44:45], v[113:114], v[152:153], v[40:41]
	;; [unrolled: 1-line block ×3, first 2 shown]
	v_fma_f64 v[54:55], v[128:129], v[212:213], -v[52:53]
	v_mul_f64 v[52:53], v[128:129], v[214:215]
	v_mul_f64 v[38:39], v[113:114], v[154:155]
	v_fma_f64 v[36:37], v[86:87], v[216:217], -v[36:37]
	v_mul_f64 v[40:41], v[122:123], v[138:139]
	v_fma_f64 v[50:51], v[126:127], v[202:203], v[50:51]
	v_fma_f64 v[56:57], v[130:131], v[212:213], v[52:53]
	s_waitcnt lgkmcnt(7)
	v_mul_f64 v[52:53], v[134:135], v[182:183]
	v_fma_f64 v[38:39], v[111:112], v[152:153], -v[38:39]
	v_fma_f64 v[40:41], v[120:121], v[136:137], -v[40:41]
	;; [unrolled: 1-line block ×3, first 2 shown]
	v_mul_f64 v[52:53], v[132:133], v[182:183]
	v_fma_f64 v[60:61], v[134:135], v[180:181], v[52:53]
	v_mul_u32_u24_sdwa v52, v110, s0 dst_sel:DWORD dst_unused:UNUSED_PAD src0_sel:WORD_0 src1_sel:DWORD
	v_lshrrev_b32_e32 v86, 18, v52
	v_mul_lo_u16_e32 v52, 13, v86
	v_sub_u16_e32 v87, v110, v52
	v_mul_lo_u16_e32 v52, 6, v87
	v_lshlrev_b32_e32 v88, 4, v52
	global_load_dwordx4 v[130:133], v88, s[4:5] offset:48
	global_load_dwordx4 v[220:223], v88, s[4:5] offset:32
	;; [unrolled: 1-line block ×3, first 2 shown]
	global_load_dwordx4 v[111:114], v88, s[4:5]
	s_movk_i32 s0, 0x60
	s_waitcnt vmcnt(0) lgkmcnt(5)
	v_mul_f64 v[52:53], v[34:35], v[113:114]
	v_fma_f64 v[52:53], v[32:33], v[111:112], -v[52:53]
	v_mul_f64 v[32:33], v[32:33], v[113:114]
	buffer_store_dword v111, off, s[52:55], 0 offset:332 ; 4-byte Folded Spill
	s_nop 0
	buffer_store_dword v112, off, s[52:55], 0 offset:336 ; 4-byte Folded Spill
	buffer_store_dword v113, off, s[52:55], 0 offset:340 ; 4-byte Folded Spill
	;; [unrolled: 1-line block ×3, first 2 shown]
	v_fma_f64 v[34:35], v[34:35], v[111:112], v[32:33]
	s_waitcnt lgkmcnt(4)
	v_mul_f64 v[32:33], v[30:31], v[96:97]
	v_fma_f64 v[32:33], v[28:29], v[94:95], -v[32:33]
	v_mul_f64 v[28:29], v[28:29], v[96:97]
	buffer_store_dword v94, off, s[52:55], 0 offset:300 ; 4-byte Folded Spill
	s_nop 0
	buffer_store_dword v95, off, s[52:55], 0 offset:304 ; 4-byte Folded Spill
	buffer_store_dword v96, off, s[52:55], 0 offset:308 ; 4-byte Folded Spill
	;; [unrolled: 1-line block ×3, first 2 shown]
	global_load_dwordx4 v[96:99], v88, s[4:5] offset:80
	s_nop 0
	global_load_dwordx4 v[111:114], v88, s[4:5] offset:64
	v_fma_f64 v[30:31], v[30:31], v[94:95], v[28:29]
	s_waitcnt lgkmcnt(3)
	v_mul_f64 v[28:29], v[26:27], v[222:223]
	v_fma_f64 v[28:29], v[24:25], v[220:221], -v[28:29]
	v_mul_f64 v[24:25], v[24:25], v[222:223]
	v_fma_f64 v[24:25], v[26:27], v[220:221], v[24:25]
	s_waitcnt lgkmcnt(2)
	v_mul_f64 v[26:27], v[22:23], v[132:133]
	v_fma_f64 v[26:27], v[20:21], v[130:131], -v[26:27]
	v_mul_f64 v[20:21], v[20:21], v[132:133]
	v_fma_f64 v[20:21], v[22:23], v[130:131], v[20:21]
	s_waitcnt vmcnt(0) lgkmcnt(1)
	v_mul_f64 v[22:23], v[18:19], v[113:114]
	v_fma_f64 v[22:23], v[16:17], v[111:112], -v[22:23]
	v_mul_f64 v[16:17], v[16:17], v[113:114]
	buffer_store_dword v111, off, s[52:55], 0 offset:356 ; 4-byte Folded Spill
	s_nop 0
	buffer_store_dword v112, off, s[52:55], 0 offset:360 ; 4-byte Folded Spill
	buffer_store_dword v113, off, s[52:55], 0 offset:364 ; 4-byte Folded Spill
	;; [unrolled: 1-line block ×3, first 2 shown]
	v_fma_f64 v[88:89], v[18:19], v[111:112], v[16:17]
	s_waitcnt lgkmcnt(0)
	v_mul_f64 v[16:17], v[14:15], v[98:99]
	v_add_f64 v[18:19], v[68:69], -v[92:93]
	v_mov_b32_e32 v111, s5
	v_fma_f64 v[94:95], v[12:13], v[96:97], -v[16:17]
	v_mul_f64 v[12:13], v[12:13], v[98:99]
	buffer_store_dword v96, off, s[52:55], 0 offset:316 ; 4-byte Folded Spill
	s_nop 0
	buffer_store_dword v97, off, s[52:55], 0 offset:320 ; 4-byte Folded Spill
	buffer_store_dword v98, off, s[52:55], 0 offset:324 ; 4-byte Folded Spill
	buffer_store_dword v99, off, s[52:55], 0 offset:328 ; 4-byte Folded Spill
	v_add_f64 v[16:17], v[62:63], -v[90:91]
	s_waitcnt vmcnt(0)
	s_barrier
	v_fma_f64 v[96:97], v[14:15], v[96:97], v[12:13]
	v_add_f64 v[12:13], v[62:63], v[90:91]
	v_add_f64 v[14:15], v[68:69], v[92:93]
	;; [unrolled: 1-line block ×4, first 2 shown]
	v_add_f64 v[64:65], v[64:65], -v[80:81]
	v_add_f64 v[70:71], v[70:71], -v[82:83]
	v_add_f64 v[80:81], v[66:67], v[74:75]
	v_add_f64 v[82:83], v[72:73], v[76:77]
	v_add_f64 v[66:67], v[74:75], -v[66:67]
	v_add_f64 v[72:73], v[76:77], -v[72:73]
	v_add_f64 v[74:75], v[62:63], v[12:13]
	v_add_f64 v[76:77], v[68:69], v[14:15]
	v_add_f64 v[90:91], v[62:63], -v[12:13]
	v_add_f64 v[92:93], v[68:69], -v[14:15]
	;; [unrolled: 1-line block ×6, first 2 shown]
	v_add_f64 v[98:99], v[66:67], v[64:65]
	v_add_f64 v[101:102], v[72:73], v[70:71]
	v_add_f64 v[140:141], v[66:67], -v[64:65]
	v_add_f64 v[142:143], v[72:73], -v[70:71]
	;; [unrolled: 1-line block ×4, first 2 shown]
	v_add_f64 v[74:75], v[80:81], v[74:75]
	v_add_f64 v[76:77], v[82:83], v[76:77]
	v_add_f64 v[66:67], v[16:17], -v[66:67]
	v_add_f64 v[72:73], v[18:19], -v[72:73]
	v_add_f64 v[16:17], v[98:99], v[16:17]
	v_add_f64 v[18:19], v[101:102], v[18:19]
	v_mul_f64 v[12:13], v[12:13], s[12:13]
	v_mul_f64 v[14:15], v[14:15], s[12:13]
	v_add_f64 v[8:9], v[8:9], v[74:75]
	v_add_f64 v[10:11], v[10:11], v[76:77]
	v_mul_f64 v[80:81], v[62:63], s[2:3]
	v_mul_f64 v[82:83], v[68:69], s[2:3]
	;; [unrolled: 1-line block ×6, first 2 shown]
	v_fma_f64 v[74:75], v[74:75], s[18:19], v[8:9]
	v_fma_f64 v[76:77], v[76:77], s[18:19], v[10:11]
	;; [unrolled: 1-line block ×4, first 2 shown]
	v_fma_f64 v[80:81], v[90:91], s[20:21], -v[80:81]
	v_fma_f64 v[82:83], v[92:93], s[20:21], -v[82:83]
	;; [unrolled: 1-line block ×4, first 2 shown]
	v_fma_f64 v[90:91], v[66:67], s[26:27], v[98:99]
	v_fma_f64 v[92:93], v[72:73], s[26:27], v[101:102]
	v_fma_f64 v[64:65], v[64:65], s[14:15], -v[98:99]
	v_fma_f64 v[70:71], v[70:71], s[14:15], -v[101:102]
	;; [unrolled: 1-line block ×4, first 2 shown]
	v_add_f64 v[98:99], v[62:63], v[74:75]
	v_add_f64 v[101:102], v[68:69], v[76:77]
	;; [unrolled: 1-line block ×6, first 2 shown]
	v_fma_f64 v[82:83], v[16:17], s[22:23], v[90:91]
	v_fma_f64 v[90:91], v[18:19], s[22:23], v[92:93]
	;; [unrolled: 1-line block ×6, first 2 shown]
	v_add_f64 v[14:15], v[101:102], -v[82:83]
	v_add_f64 v[12:13], v[90:91], v[98:99]
	v_add_f64 v[64:65], v[92:93], v[80:81]
	v_add_f64 v[62:63], v[68:69], -v[70:71]
	v_add_f64 v[18:19], v[76:77], -v[140:141]
	v_add_f64 v[16:17], v[72:73], v[74:75]
	v_add_f64 v[66:67], v[70:71], v[68:69]
	v_add_f64 v[68:69], v[80:81], -v[92:93]
	v_add_f64 v[70:71], v[74:75], -v[72:73]
	v_add_f64 v[72:73], v[140:141], v[76:77]
	v_add_f64 v[76:77], v[82:83], v[101:102]
	v_add_f64 v[80:81], v[36:37], v[58:59]
	v_add_f64 v[82:83], v[42:43], v[60:61]
	v_add_f64 v[36:37], v[36:37], -v[58:59]
	v_add_f64 v[42:43], v[42:43], -v[60:61]
	v_add_f64 v[58:59], v[38:39], v[54:55]
	v_add_f64 v[60:61], v[44:45], v[56:57]
	v_add_f64 v[38:39], v[38:39], -v[54:55]
	v_add_f64 v[44:45], v[44:45], -v[56:57]
	v_add_f64 v[54:55], v[40:41], v[48:49]
	v_add_f64 v[56:57], v[46:47], v[50:51]
	;; [unrolled: 4-line block ×3, first 2 shown]
	v_add_f64 v[74:75], v[98:99], -v[90:91]
	v_add_f64 v[90:91], v[58:59], -v[80:81]
	;; [unrolled: 1-line block ×6, first 2 shown]
	v_add_f64 v[98:99], v[40:41], v[38:39]
	v_add_f64 v[101:102], v[46:47], v[44:45]
	v_add_f64 v[140:141], v[40:41], -v[38:39]
	v_add_f64 v[142:143], v[46:47], -v[44:45]
	v_add_f64 v[48:49], v[54:55], v[48:49]
	v_add_f64 v[50:51], v[56:57], v[50:51]
	v_add_f64 v[60:61], v[56:57], -v[60:61]
	v_add_f64 v[40:41], v[36:37], -v[40:41]
	;; [unrolled: 1-line block ×5, first 2 shown]
	v_add_f64 v[36:37], v[98:99], v[36:37]
	v_add_f64 v[42:43], v[101:102], v[42:43]
	;; [unrolled: 1-line block ×4, first 2 shown]
	v_mul_f64 v[54:55], v[80:81], s[12:13]
	v_mul_f64 v[56:57], v[82:83], s[12:13]
	;; [unrolled: 1-line block ×7, first 2 shown]
	v_fma_f64 v[48:49], v[48:49], s[18:19], v[4:5]
	v_fma_f64 v[50:51], v[50:51], s[18:19], v[6:7]
	;; [unrolled: 1-line block ×4, first 2 shown]
	v_fma_f64 v[80:81], v[90:91], s[20:21], -v[80:81]
	v_fma_f64 v[54:55], v[90:91], s[24:25], -v[54:55]
	v_fma_f64 v[90:91], v[40:41], s[26:27], v[98:99]
	v_fma_f64 v[44:45], v[44:45], s[14:15], -v[101:102]
	v_mul_f64 v[140:141], v[38:39], s[14:15]
	v_fma_f64 v[82:83], v[92:93], s[20:21], -v[82:83]
	v_fma_f64 v[56:57], v[92:93], s[24:25], -v[56:57]
	v_fma_f64 v[92:93], v[46:47], s[26:27], v[101:102]
	v_fma_f64 v[38:39], v[38:39], s[14:15], -v[98:99]
	v_add_f64 v[58:59], v[58:59], v[48:49]
	v_add_f64 v[60:61], v[60:61], v[50:51]
	;; [unrolled: 1-line block ×4, first 2 shown]
	v_fma_f64 v[90:91], v[36:37], s[22:23], v[90:91]
	v_fma_f64 v[48:49], v[42:43], s[22:23], v[44:45]
	v_fma_f64 v[40:41], v[40:41], s[28:29], -v[140:141]
	v_fma_f64 v[46:47], v[46:47], s[28:29], -v[142:143]
	v_add_f64 v[82:83], v[82:83], v[50:51]
	v_add_f64 v[56:57], v[56:57], v[50:51]
	v_fma_f64 v[92:93], v[42:43], s[22:23], v[92:93]
	v_fma_f64 v[50:51], v[36:37], s[22:23], v[38:39]
	v_add_f64 v[38:39], v[60:61], -v[90:91]
	v_add_f64 v[44:45], v[80:81], -v[48:49]
	v_add_f64 v[48:49], v[48:49], v[80:81]
	v_add_f64 v[60:61], v[90:91], v[60:61]
	;; [unrolled: 1-line block ×4, first 2 shown]
	v_fma_f64 v[98:99], v[36:37], s[22:23], v[40:41]
	v_fma_f64 v[101:102], v[42:43], s[22:23], v[46:47]
	v_add_f64 v[36:37], v[92:93], v[58:59]
	v_add_f64 v[46:47], v[50:51], v[82:83]
	v_add_f64 v[50:51], v[82:83], -v[50:51]
	v_add_f64 v[58:59], v[58:59], -v[92:93]
	v_add_f64 v[82:83], v[34:35], v[96:97]
	v_add_f64 v[92:93], v[30:31], v[88:89]
	v_add_f64 v[34:35], v[34:35], -v[96:97]
	v_add_f64 v[22:23], v[32:33], -v[22:23]
	;; [unrolled: 1-line block ×3, first 2 shown]
	v_add_f64 v[32:33], v[28:29], v[26:27]
	v_add_f64 v[88:89], v[24:25], v[20:21]
	v_add_f64 v[26:27], v[26:27], -v[28:29]
	v_add_f64 v[20:21], v[20:21], -v[24:25]
	v_add_f64 v[24:25], v[90:91], v[80:81]
	v_add_f64 v[28:29], v[92:93], v[82:83]
	v_add_f64 v[52:53], v[52:53], -v[94:95]
	v_add_f64 v[40:41], v[101:102], v[54:55]
	v_add_f64 v[42:43], v[56:57], -v[98:99]
	v_add_f64 v[54:55], v[54:55], -v[101:102]
	v_add_f64 v[56:57], v[98:99], v[56:57]
	v_add_f64 v[94:95], v[90:91], -v[80:81]
	v_add_f64 v[96:97], v[92:93], -v[82:83]
	v_add_f64 v[80:81], v[80:81], -v[32:33]
	v_add_f64 v[82:83], v[82:83], -v[88:89]
	v_add_f64 v[92:93], v[88:89], -v[92:93]
	v_add_f64 v[98:99], v[26:27], v[22:23]
	v_add_f64 v[101:102], v[20:21], v[30:31]
	v_add_f64 v[142:143], v[20:21], -v[30:31]
	v_add_f64 v[30:31], v[30:31], -v[34:35]
	v_add_f64 v[24:25], v[32:33], v[24:25]
	v_add_f64 v[90:91], v[32:33], -v[90:91]
	v_add_f64 v[140:141], v[26:27], -v[22:23]
	;; [unrolled: 3-line block ×3, first 2 shown]
	v_add_f64 v[20:21], v[34:35], -v[20:21]
	v_add_f64 v[32:33], v[98:99], v[52:53]
	v_add_f64 v[34:35], v[101:102], v[34:35]
	;; [unrolled: 1-line block ×3, first 2 shown]
	v_mul_f64 v[52:53], v[80:81], s[12:13]
	v_mul_f64 v[80:81], v[82:83], s[12:13]
	;; [unrolled: 1-line block ×5, first 2 shown]
	v_add_f64 v[2:3], v[2:3], v[28:29]
	v_mul_f64 v[82:83], v[90:91], s[2:3]
	v_mul_f64 v[98:99], v[140:141], s[16:17]
	;; [unrolled: 1-line block ×3, first 2 shown]
	v_fma_f64 v[24:25], v[24:25], s[18:19], v[0:1]
	v_fma_f64 v[90:91], v[90:91], s[2:3], v[52:53]
	;; [unrolled: 1-line block ×3, first 2 shown]
	v_fma_f64 v[88:89], v[96:97], s[20:21], -v[88:89]
	v_fma_f64 v[52:53], v[94:95], s[24:25], -v[52:53]
	;; [unrolled: 1-line block ×3, first 2 shown]
	v_fma_f64 v[96:97], v[20:21], s[26:27], v[101:102]
	v_fma_f64 v[20:21], v[20:21], s[28:29], -v[142:143]
	v_fma_f64 v[28:29], v[28:29], s[18:19], v[2:3]
	v_fma_f64 v[82:83], v[94:95], s[20:21], -v[82:83]
	;; [unrolled: 2-line block ×3, first 2 shown]
	v_fma_f64 v[22:23], v[22:23], s[14:15], -v[98:99]
	v_fma_f64 v[30:31], v[30:31], s[14:15], -v[101:102]
	v_add_f64 v[52:53], v[52:53], v[24:25]
	v_fma_f64 v[140:141], v[34:35], s[22:23], v[20:21]
	v_add_f64 v[90:91], v[90:91], v[24:25]
	v_add_f64 v[92:93], v[92:93], v[28:29]
	v_fma_f64 v[94:95], v[32:33], s[22:23], v[94:95]
	v_fma_f64 v[96:97], v[34:35], s[22:23], v[96:97]
	v_add_f64 v[80:81], v[80:81], v[28:29]
	v_fma_f64 v[142:143], v[32:33], s[22:23], v[26:27]
	v_add_f64 v[82:83], v[82:83], v[24:25]
	v_add_f64 v[88:89], v[88:89], v[28:29]
	v_fma_f64 v[98:99], v[32:33], s[22:23], v[22:23]
	v_fma_f64 v[101:102], v[34:35], s[22:23], v[30:31]
	v_add_f64 v[24:25], v[140:141], v[52:53]
	v_add_f64 v[140:141], v[52:53], -v[140:141]
	v_mul_u32_u24_e32 v52, 0x5b, v78
	v_add_lshl_u32 v134, v52, v79, 4
	v_add_f64 v[144:145], v[90:91], -v[96:97]
	v_add_f64 v[146:147], v[94:95], v[92:93]
	ds_write_b128 v134, v[8:11]
	ds_write_b128 v134, v[12:15] offset:208
	ds_write_b128 v134, v[16:19] offset:416
	;; [unrolled: 1-line block ×6, first 2 shown]
	v_mul_u32_u24_e32 v8, 0x5b, v84
	v_add_f64 v[20:21], v[96:97], v[90:91]
	v_add_f64 v[22:23], v[92:93], -v[94:95]
	v_add_lshl_u32 v135, v8, v85, 4
	v_add_f64 v[26:27], v[80:81], -v[142:143]
	ds_write_b128 v135, v[4:7]
	ds_write_b128 v135, v[36:39] offset:208
	ds_write_b128 v135, v[40:43] offset:416
	;; [unrolled: 1-line block ×6, first 2 shown]
	v_mov_b32_e32 v61, s5
	v_add_f64 v[28:29], v[82:83], -v[101:102]
	v_add_f64 v[30:31], v[98:99], v[88:89]
	v_mov_b32_e32 v60, s4
	v_add_f64 v[32:33], v[101:102], v[82:83]
	v_add_f64 v[34:35], v[88:89], -v[98:99]
	v_add_f64 v[142:143], v[142:143], v[80:81]
	v_mad_u64_u32 v[80:81], s[0:1], v103, s0, v[60:61]
	v_mad_legacy_u16 v4, v86, s33, v87
	v_lshlrev_b32_e32 v4, 4, v4
	ds_write_b128 v4, v[0:3]
	ds_write_b128 v4, v[20:23] offset:208
	ds_write_b128 v4, v[24:27] offset:416
	;; [unrolled: 1-line block ×5, first 2 shown]
	buffer_store_dword v4, off, s[52:55], 0 offset:348 ; 4-byte Folded Spill
	ds_write_b128 v4, v[144:147] offset:1248
	s_waitcnt vmcnt(0) lgkmcnt(0)
	s_barrier
	ds_read_b128 v[8:11], v108
	ds_read_b128 v[20:23], v108 offset:4368
	ds_read_b128 v[24:27], v108 offset:8736
	;; [unrolled: 1-line block ×20, first 2 shown]
	global_load_dwordx4 v[140:143], v[80:81], off offset:1296
	global_load_dwordx4 v[144:147], v[80:81], off offset:1280
	;; [unrolled: 1-line block ×6, first 2 shown]
	s_movk_i32 s0, 0x6817
	s_movk_i32 s5, 0x2000
	s_waitcnt vmcnt(2) lgkmcnt(14)
	v_mul_f64 v[60:61], v[22:23], v[162:163]
	v_fma_f64 v[60:61], v[20:21], v[160:161], -v[60:61]
	v_mul_f64 v[20:21], v[20:21], v[162:163]
	v_fma_f64 v[66:67], v[22:23], v[160:161], v[20:21]
	v_mul_f64 v[20:21], v[26:27], v[150:151]
	v_fma_f64 v[62:63], v[24:25], v[148:149], -v[20:21]
	v_mul_f64 v[20:21], v[24:25], v[150:151]
	v_fma_f64 v[68:69], v[26:27], v[148:149], v[20:21]
	;; [unrolled: 4-line block ×4, first 2 shown]
	s_waitcnt vmcnt(0)
	v_mul_f64 v[20:21], v[38:39], v[166:167]
	v_fma_f64 v[80:81], v[36:37], v[164:165], -v[20:21]
	v_mul_f64 v[20:21], v[36:37], v[166:167]
	v_fma_f64 v[90:91], v[38:39], v[164:165], v[20:21]
	v_mul_f64 v[20:21], v[42:43], v[158:159]
	v_fma_f64 v[92:93], v[40:41], v[156:157], -v[20:21]
	v_mul_f64 v[20:21], v[40:41], v[158:159]
	v_fma_f64 v[94:95], v[42:43], v[156:157], v[20:21]
	s_waitcnt lgkmcnt(12)
	v_mul_f64 v[20:21], v[46:47], v[162:163]
	v_fma_f64 v[36:37], v[44:45], v[160:161], -v[20:21]
	v_mul_f64 v[20:21], v[44:45], v[162:163]
	v_fma_f64 v[42:43], v[46:47], v[160:161], v[20:21]
	s_waitcnt lgkmcnt(11)
	;; [unrolled: 5-line block ×6, first 2 shown]
	v_mul_f64 v[20:21], v[78:79], v[158:159]
	v_fma_f64 v[56:57], v[76:77], v[156:157], -v[20:21]
	v_mul_f64 v[20:21], v[76:77], v[158:159]
	v_fma_f64 v[58:59], v[78:79], v[156:157], v[20:21]
	v_mul_u32_u24_sdwa v20, v110, s0 dst_sel:DWORD dst_unused:UNUSED_PAD src0_sel:WORD_0 src1_sel:DWORD
	v_sub_u16_sdwa v21, v110, v20 dst_sel:DWORD dst_unused:UNUSED_PAD src0_sel:DWORD src1_sel:WORD_1
	v_lshrrev_b16_e32 v21, 1, v21
	v_add_u16_sdwa v20, v21, v20 dst_sel:DWORD dst_unused:UNUSED_PAD src0_sel:DWORD src1_sel:WORD_1
	v_lshrrev_b16_e32 v20, 6, v20
	v_mul_lo_u16_e32 v20, 0x5b, v20
	v_sub_u16_e32 v72, v110, v20
	v_mul_lo_u16_e32 v20, 0x60, v72
	v_add_co_u32_e64 v73, s[0:1], s4, v20
	v_addc_co_u32_e64 v74, s[0:1], 0, v111, s[0:1]
	global_load_dwordx4 v[75:78], v[73:74], off offset:1296
	global_load_dwordx4 v[32:35], v[73:74], off offset:1280
	global_load_dwordx4 v[28:31], v[73:74], off offset:1264
	global_load_dwordx4 v[24:27], v[73:74], off offset:1248
	v_lshlrev_b32_e32 v109, 4, v72
	s_waitcnt vmcnt(0) lgkmcnt(5)
	v_mul_f64 v[20:21], v[86:87], v[26:27]
	v_mul_f64 v[22:23], v[84:85], v[26:27]
	v_fma_f64 v[20:21], v[84:85], v[24:25], -v[20:21]
	buffer_store_dword v24, off, s[52:55], 0 offset:420 ; 4-byte Folded Spill
	s_nop 0
	buffer_store_dword v25, off, s[52:55], 0 offset:424 ; 4-byte Folded Spill
	buffer_store_dword v26, off, s[52:55], 0 offset:428 ; 4-byte Folded Spill
	;; [unrolled: 1-line block ×3, first 2 shown]
	v_fma_f64 v[26:27], v[86:87], v[24:25], v[22:23]
	s_waitcnt lgkmcnt(4)
	v_mul_f64 v[22:23], v[170:171], v[30:31]
	v_mul_f64 v[24:25], v[168:169], v[30:31]
	v_fma_f64 v[22:23], v[168:169], v[28:29], -v[22:23]
	buffer_store_dword v28, off, s[52:55], 0 offset:404 ; 4-byte Folded Spill
	s_nop 0
	buffer_store_dword v29, off, s[52:55], 0 offset:408 ; 4-byte Folded Spill
	buffer_store_dword v30, off, s[52:55], 0 offset:412 ; 4-byte Folded Spill
	buffer_store_dword v31, off, s[52:55], 0 offset:416 ; 4-byte Folded Spill
	s_waitcnt lgkmcnt(3)
	v_mul_f64 v[30:31], v[188:189], v[34:35]
	v_fma_f64 v[28:29], v[170:171], v[28:29], v[24:25]
	v_mul_f64 v[24:25], v[190:191], v[34:35]
	v_fma_f64 v[24:25], v[188:189], v[32:33], -v[24:25]
	buffer_store_dword v32, off, s[52:55], 0 offset:388 ; 4-byte Folded Spill
	s_nop 0
	buffer_store_dword v33, off, s[52:55], 0 offset:392 ; 4-byte Folded Spill
	buffer_store_dword v34, off, s[52:55], 0 offset:396 ; 4-byte Folded Spill
	;; [unrolled: 1-line block ×3, first 2 shown]
	s_waitcnt lgkmcnt(2)
	v_mul_f64 v[34:35], v[192:193], v[77:78]
	v_fma_f64 v[30:31], v[190:191], v[32:33], v[30:31]
	v_mul_f64 v[32:33], v[194:195], v[77:78]
	v_fma_f64 v[32:33], v[192:193], v[75:76], -v[32:33]
	buffer_store_dword v75, off, s[52:55], 0 offset:372 ; 4-byte Folded Spill
	s_nop 0
	buffer_store_dword v76, off, s[52:55], 0 offset:376 ; 4-byte Folded Spill
	buffer_store_dword v77, off, s[52:55], 0 offset:380 ; 4-byte Folded Spill
	;; [unrolled: 1-line block ×3, first 2 shown]
	global_load_dwordx4 v[168:171], v[73:74], off offset:1328
	global_load_dwordx4 v[188:191], v[73:74], off offset:1312
	s_waitcnt vmcnt(0) lgkmcnt(0)
	s_barrier
	v_fma_f64 v[34:35], v[194:195], v[75:76], v[34:35]
	v_add_f64 v[75:76], v[70:71], v[88:89]
	v_add_f64 v[70:71], v[88:89], -v[70:71]
	v_mul_f64 v[73:74], v[18:19], v[190:191]
	v_fma_f64 v[77:78], v[16:17], v[188:189], -v[73:74]
	v_mul_f64 v[16:17], v[16:17], v[190:191]
	v_add_f64 v[73:74], v[64:65], v[82:83]
	v_add_f64 v[64:65], v[82:83], -v[64:65]
	v_fma_f64 v[84:85], v[18:19], v[188:189], v[16:17]
	v_mul_f64 v[16:17], v[14:15], v[170:171]
	v_add_f64 v[18:19], v[66:67], -v[94:95]
	v_fma_f64 v[86:87], v[12:13], v[168:169], -v[16:17]
	v_mul_f64 v[12:13], v[12:13], v[170:171]
	v_add_f64 v[16:17], v[60:61], -v[92:93]
	v_fma_f64 v[96:97], v[14:15], v[168:169], v[12:13]
	v_add_f64 v[12:13], v[60:61], v[92:93]
	v_add_f64 v[14:15], v[66:67], v[94:95]
	v_add_f64 v[60:61], v[62:63], v[80:81]
	v_add_f64 v[66:67], v[68:69], v[90:91]
	v_add_f64 v[62:63], v[62:63], -v[80:81]
	v_add_f64 v[68:69], v[68:69], -v[90:91]
	v_add_f64 v[79:80], v[60:61], v[12:13]
	v_add_f64 v[81:82], v[66:67], v[14:15]
	v_add_f64 v[88:89], v[60:61], -v[12:13]
	v_add_f64 v[90:91], v[66:67], -v[14:15]
	;; [unrolled: 1-line block ×6, first 2 shown]
	v_add_f64 v[92:93], v[64:65], v[62:63]
	v_add_f64 v[94:95], v[70:71], v[68:69]
	v_add_f64 v[98:99], v[64:65], -v[62:63]
	v_add_f64 v[192:193], v[70:71], -v[68:69]
	;; [unrolled: 1-line block ×4, first 2 shown]
	v_add_f64 v[73:74], v[73:74], v[79:80]
	v_add_f64 v[75:76], v[75:76], v[81:82]
	v_add_f64 v[64:65], v[16:17], -v[64:65]
	v_add_f64 v[70:71], v[18:19], -v[70:71]
	v_add_f64 v[16:17], v[92:93], v[16:17]
	v_add_f64 v[18:19], v[94:95], v[18:19]
	v_mul_f64 v[12:13], v[12:13], s[12:13]
	v_mul_f64 v[14:15], v[14:15], s[12:13]
	v_add_f64 v[8:9], v[8:9], v[73:74]
	v_add_f64 v[10:11], v[10:11], v[75:76]
	v_mul_f64 v[79:80], v[60:61], s[2:3]
	v_mul_f64 v[81:82], v[66:67], s[2:3]
	;; [unrolled: 1-line block ×6, first 2 shown]
	v_fma_f64 v[73:74], v[73:74], s[18:19], v[8:9]
	v_fma_f64 v[75:76], v[75:76], s[18:19], v[10:11]
	;; [unrolled: 1-line block ×4, first 2 shown]
	v_fma_f64 v[79:80], v[88:89], s[20:21], -v[79:80]
	v_fma_f64 v[81:82], v[90:91], s[20:21], -v[81:82]
	;; [unrolled: 1-line block ×4, first 2 shown]
	v_fma_f64 v[88:89], v[64:65], s[26:27], v[92:93]
	v_fma_f64 v[90:91], v[70:71], s[26:27], v[94:95]
	v_fma_f64 v[62:63], v[62:63], s[14:15], -v[92:93]
	v_fma_f64 v[68:69], v[68:69], s[14:15], -v[94:95]
	;; [unrolled: 1-line block ×4, first 2 shown]
	v_add_f64 v[92:93], v[60:61], v[73:74]
	v_add_f64 v[94:95], v[66:67], v[75:76]
	;; [unrolled: 1-line block ×6, first 2 shown]
	v_fma_f64 v[81:82], v[16:17], s[22:23], v[88:89]
	v_fma_f64 v[88:89], v[18:19], s[22:23], v[90:91]
	v_fma_f64 v[90:91], v[16:17], s[22:23], v[62:63]
	v_fma_f64 v[68:69], v[18:19], s[22:23], v[68:69]
	v_fma_f64 v[98:99], v[16:17], s[22:23], v[64:65]
	v_fma_f64 v[70:71], v[18:19], s[22:23], v[70:71]
	v_add_f64 v[14:15], v[94:95], -v[81:82]
	v_add_f64 v[12:13], v[88:89], v[92:93]
	v_add_f64 v[62:63], v[90:91], v[79:80]
	v_add_f64 v[60:61], v[66:67], -v[68:69]
	v_add_f64 v[18:19], v[75:76], -v[98:99]
	v_add_f64 v[16:17], v[70:71], v[73:74]
	v_add_f64 v[64:65], v[68:69], v[66:67]
	v_add_f64 v[66:67], v[79:80], -v[90:91]
	v_add_f64 v[68:69], v[73:74], -v[70:71]
	v_add_f64 v[70:71], v[98:99], v[75:76]
	v_add_f64 v[75:76], v[81:82], v[94:95]
	;; [unrolled: 1-line block ×4, first 2 shown]
	v_add_f64 v[36:37], v[36:37], -v[56:57]
	v_add_f64 v[42:43], v[42:43], -v[58:59]
	v_add_f64 v[56:57], v[38:39], v[52:53]
	v_add_f64 v[58:59], v[44:45], v[54:55]
	v_add_f64 v[38:39], v[38:39], -v[52:53]
	v_add_f64 v[44:45], v[44:45], -v[54:55]
	v_add_f64 v[52:53], v[40:41], v[48:49]
	v_add_f64 v[54:55], v[46:47], v[50:51]
	;; [unrolled: 4-line block ×3, first 2 shown]
	v_add_f64 v[73:74], v[92:93], -v[88:89]
	v_add_f64 v[88:89], v[56:57], -v[79:80]
	;; [unrolled: 1-line block ×7, first 2 shown]
	v_add_f64 v[92:93], v[40:41], v[38:39]
	v_add_f64 v[94:95], v[46:47], v[44:45]
	v_add_f64 v[98:99], v[40:41], -v[38:39]
	v_add_f64 v[192:193], v[46:47], -v[44:45]
	v_add_f64 v[48:49], v[52:53], v[48:49]
	v_add_f64 v[50:51], v[54:55], v[50:51]
	v_add_f64 v[40:41], v[36:37], -v[40:41]
	v_add_f64 v[46:47], v[42:43], -v[46:47]
	;; [unrolled: 1-line block ×4, first 2 shown]
	v_add_f64 v[36:37], v[92:93], v[36:37]
	v_add_f64 v[42:43], v[94:95], v[42:43]
	;; [unrolled: 1-line block ×4, first 2 shown]
	v_mul_f64 v[52:53], v[79:80], s[12:13]
	v_mul_f64 v[54:55], v[81:82], s[12:13]
	;; [unrolled: 1-line block ×8, first 2 shown]
	v_fma_f64 v[48:49], v[48:49], s[18:19], v[4:5]
	v_fma_f64 v[50:51], v[50:51], s[18:19], v[6:7]
	v_fma_f64 v[56:57], v[56:57], s[2:3], v[52:53]
	v_fma_f64 v[58:59], v[58:59], s[2:3], v[54:55]
	v_fma_f64 v[79:80], v[88:89], s[20:21], -v[79:80]
	v_fma_f64 v[81:82], v[90:91], s[20:21], -v[81:82]
	;; [unrolled: 1-line block ×4, first 2 shown]
	v_fma_f64 v[88:89], v[40:41], s[26:27], v[92:93]
	v_fma_f64 v[38:39], v[38:39], s[14:15], -v[92:93]
	v_fma_f64 v[44:45], v[44:45], s[14:15], -v[94:95]
	v_fma_f64 v[90:91], v[46:47], s[26:27], v[94:95]
	v_fma_f64 v[46:47], v[46:47], s[28:29], -v[192:193]
	v_add_f64 v[56:57], v[56:57], v[48:49]
	v_add_f64 v[58:59], v[58:59], v[50:51]
	;; [unrolled: 1-line block ×6, first 2 shown]
	v_fma_f64 v[88:89], v[36:37], s[22:23], v[88:89]
	v_fma_f64 v[50:51], v[36:37], s[22:23], v[38:39]
	;; [unrolled: 1-line block ×3, first 2 shown]
	v_fma_f64 v[40:41], v[40:41], s[28:29], -v[98:99]
	v_fma_f64 v[94:95], v[42:43], s[22:23], v[46:47]
	v_fma_f64 v[90:91], v[42:43], s[22:23], v[90:91]
	v_add_f64 v[38:39], v[58:59], -v[88:89]
	v_add_f64 v[46:47], v[50:51], v[81:82]
	v_add_f64 v[44:45], v[79:80], -v[48:49]
	v_add_f64 v[48:49], v[48:49], v[79:80]
	;; [unrolled: 2-line block ×3, first 2 shown]
	v_add_f64 v[79:80], v[20:21], v[86:87]
	v_add_f64 v[81:82], v[26:27], v[96:97]
	v_add_f64 v[20:21], v[20:21], -v[86:87]
	v_add_f64 v[86:87], v[22:23], v[77:78]
	v_add_f64 v[88:89], v[28:29], v[84:85]
	v_fma_f64 v[92:93], v[36:37], s[22:23], v[40:41]
	v_add_f64 v[22:23], v[22:23], -v[77:78]
	v_add_f64 v[28:29], v[28:29], -v[84:85]
	v_add_f64 v[77:78], v[24:25], v[32:33]
	v_add_f64 v[83:84], v[30:31], v[34:35]
	v_add_f64 v[24:25], v[32:33], -v[24:25]
	v_add_f64 v[30:31], v[34:35], -v[30:31]
	v_add_f64 v[32:33], v[86:87], v[79:80]
	v_add_f64 v[34:35], v[88:89], v[81:82]
	v_add_f64 v[26:27], v[26:27], -v[96:97]
	v_add_f64 v[36:37], v[90:91], v[56:57]
	v_add_f64 v[40:41], v[94:95], v[52:53]
	v_add_f64 v[42:43], v[54:55], -v[92:93]
	v_add_f64 v[52:53], v[52:53], -v[94:95]
	v_add_f64 v[54:55], v[92:93], v[54:55]
	v_add_f64 v[56:57], v[56:57], -v[90:91]
	v_add_f64 v[90:91], v[86:87], -v[79:80]
	;; [unrolled: 1-line block ×7, first 2 shown]
	v_add_f64 v[94:95], v[24:25], v[22:23]
	v_add_f64 v[96:97], v[30:31], v[28:29]
	v_add_f64 v[98:99], v[24:25], -v[22:23]
	v_add_f64 v[192:193], v[30:31], -v[28:29]
	v_add_f64 v[32:33], v[77:78], v[32:33]
	v_add_f64 v[34:35], v[83:84], v[34:35]
	v_add_f64 v[22:23], v[22:23], -v[20:21]
	v_add_f64 v[28:29], v[28:29], -v[26:27]
	;; [unrolled: 1-line block ×4, first 2 shown]
	v_add_f64 v[20:21], v[94:95], v[20:21]
	v_add_f64 v[26:27], v[96:97], v[26:27]
	;; [unrolled: 1-line block ×4, first 2 shown]
	v_mul_f64 v[77:78], v[79:80], s[12:13]
	v_mul_f64 v[79:80], v[81:82], s[12:13]
	v_mul_f64 v[81:82], v[85:86], s[2:3]
	v_mul_f64 v[83:84], v[87:88], s[2:3]
	v_mul_f64 v[94:95], v[98:99], s[16:17]
	v_mul_f64 v[96:97], v[192:193], s[16:17]
	v_mul_f64 v[98:99], v[22:23], s[14:15]
	v_mul_f64 v[192:193], v[28:29], s[14:15]
	v_fma_f64 v[32:33], v[32:33], s[18:19], v[0:1]
	v_fma_f64 v[34:35], v[34:35], s[18:19], v[2:3]
	;; [unrolled: 1-line block ×4, first 2 shown]
	v_fma_f64 v[81:82], v[90:91], s[20:21], -v[81:82]
	v_fma_f64 v[83:84], v[92:93], s[20:21], -v[83:84]
	;; [unrolled: 1-line block ×4, first 2 shown]
	v_fma_f64 v[89:90], v[24:25], s[26:27], v[94:95]
	v_fma_f64 v[91:92], v[30:31], s[26:27], v[96:97]
	v_fma_f64 v[24:25], v[24:25], s[28:29], -v[98:99]
	v_fma_f64 v[30:31], v[30:31], s[28:29], -v[192:193]
	;; [unrolled: 1-line block ×4, first 2 shown]
	v_add_f64 v[93:94], v[85:86], v[32:33]
	v_add_f64 v[95:96], v[87:88], v[34:35]
	v_fma_f64 v[88:89], v[20:21], s[22:23], v[89:90]
	v_fma_f64 v[90:91], v[26:27], s[22:23], v[91:92]
	v_add_f64 v[77:78], v[77:78], v[32:33]
	v_add_f64 v[79:80], v[79:80], v[34:35]
	v_fma_f64 v[86:87], v[20:21], s[22:23], v[24:25]
	v_fma_f64 v[97:98], v[26:27], s[22:23], v[30:31]
	;; [unrolled: 4-line block ×3, first 2 shown]
	v_add_f64 v[20:21], v[90:91], v[93:94]
	v_add_f64 v[22:23], v[95:96], -v[88:89]
	v_add_f64 v[26:27], v[79:80], -v[86:87]
	v_add_f64 v[24:25], v[97:98], v[77:78]
	ds_write_b128 v108, v[8:11]
	ds_write_b128 v108, v[12:15] offset:1456
	ds_write_b128 v108, v[16:19] offset:2912
	;; [unrolled: 1-line block ×13, first 2 shown]
	v_add_co_u32_e64 v50, s[0:1], s4, v107
	v_add_f64 v[28:29], v[81:82], -v[32:33]
	v_add_f64 v[30:31], v[34:35], v[83:84]
	v_addc_co_u32_e64 v51, s[0:1], 0, v111, s[0:1]
	s_movk_i32 s2, 0x2700
	v_add_f64 v[32:33], v[32:33], v[81:82]
	v_add_f64 v[34:35], v[83:84], -v[34:35]
	v_add_co_u32_e64 v48, s[0:1], s2, v50
	v_add_f64 v[84:85], v[77:78], -v[97:98]
	v_add_f64 v[86:87], v[86:87], v[79:80]
	v_addc_co_u32_e64 v49, s[0:1], 0, v51, s[0:1]
	v_add_f64 v[192:193], v[93:94], -v[90:91]
	v_add_f64 v[194:195], v[88:89], v[95:96]
	v_add_co_u32_e64 v50, s[0:1], s5, v50
	v_addc_co_u32_e64 v51, s[0:1], 0, v51, s[0:1]
	ds_write_b128 v109, v[0:3] offset:20384
	ds_write_b128 v109, v[20:23] offset:21840
	;; [unrolled: 1-line block ×7, first 2 shown]
	s_waitcnt lgkmcnt(0)
	s_barrier
	ds_read_b128 v[24:27], v108
	ds_read_b128 v[36:39], v108 offset:10192
	ds_read_b128 v[40:43], v108 offset:20384
	;; [unrolled: 1-line block ×20, first 2 shown]
	global_load_dwordx4 v[206:209], v[50:51], off offset:1792
	global_load_dwordx4 v[72:75], v[48:49], off offset:16
	s_mov_b32 s3, 0xbfebb67a
	s_waitcnt vmcnt(1) lgkmcnt(14)
	v_mul_f64 v[48:49], v[38:39], v[208:209]
	v_fma_f64 v[62:63], v[36:37], v[206:207], -v[48:49]
	v_mul_f64 v[36:37], v[36:37], v[208:209]
	v_fma_f64 v[84:85], v[38:39], v[206:207], v[36:37]
	s_waitcnt vmcnt(0)
	v_mul_f64 v[36:37], v[42:43], v[74:75]
	v_fma_f64 v[70:71], v[40:41], v[72:73], -v[36:37]
	v_mul_f64 v[36:37], v[40:41], v[74:75]
	buffer_store_dword v72, off, s[52:55], 0 offset:436 ; 4-byte Folded Spill
	s_nop 0
	buffer_store_dword v73, off, s[52:55], 0 offset:440 ; 4-byte Folded Spill
	buffer_store_dword v74, off, s[52:55], 0 offset:444 ; 4-byte Folded Spill
	;; [unrolled: 1-line block ×3, first 2 shown]
	v_fma_f64 v[86:87], v[42:43], v[72:73], v[36:37]
	v_lshlrev_b32_e32 v36, 5, v253
	v_add_co_u32_e64 v38, s[0:1], s4, v36
	v_addc_co_u32_e64 v39, s[0:1], 0, v111, s[0:1]
	v_add_co_u32_e64 v36, s[0:1], s2, v38
	v_addc_co_u32_e64 v37, s[0:1], 0, v39, s[0:1]
	;; [unrolled: 2-line block ×3, first 2 shown]
	global_load_dwordx4 v[38:41], v[38:39], off offset:1792
	s_nop 0
	global_load_dwordx4 v[252:255], v[36:37], off offset:16
	s_waitcnt vmcnt(1)
	v_mul_f64 v[36:37], v[46:47], v[40:41]
	v_fma_f64 v[50:51], v[44:45], v[38:39], -v[36:37]
	v_mul_f64 v[36:37], v[44:45], v[40:41]
	buffer_store_dword v38, off, s[52:55], 0 offset:452 ; 4-byte Folded Spill
	s_nop 0
	buffer_store_dword v39, off, s[52:55], 0 offset:456 ; 4-byte Folded Spill
	buffer_store_dword v40, off, s[52:55], 0 offset:460 ; 4-byte Folded Spill
	;; [unrolled: 1-line block ×3, first 2 shown]
	v_fma_f64 v[74:75], v[46:47], v[38:39], v[36:37]
	s_waitcnt vmcnt(4)
	v_mul_f64 v[36:37], v[54:55], v[254:255]
	v_fma_f64 v[56:57], v[52:53], v[252:253], -v[36:37]
	v_mul_f64 v[36:37], v[52:53], v[254:255]
	v_fma_f64 v[78:79], v[54:55], v[252:253], v[36:37]
	v_lshlrev_b32_e32 v36, 5, v110
	v_add_co_u32_e64 v38, s[0:1], s4, v36
	v_addc_co_u32_e64 v39, s[0:1], 0, v111, s[0:1]
	v_add_co_u32_e64 v36, s[0:1], s2, v38
	v_addc_co_u32_e64 v37, s[0:1], 0, v39, s[0:1]
	;; [unrolled: 2-line block ×3, first 2 shown]
	global_load_dwordx4 v[38:41], v[38:39], off offset:1792
	s_nop 0
	global_load_dwordx4 v[42:45], v[36:37], off offset:16
	s_waitcnt vmcnt(1) lgkmcnt(13)
	v_mul_f64 v[36:37], v[60:61], v[40:41]
	v_fma_f64 v[46:47], v[58:59], v[38:39], -v[36:37]
	v_mul_f64 v[36:37], v[58:59], v[40:41]
	buffer_store_dword v38, off, s[52:55], 0 offset:468 ; 4-byte Folded Spill
	s_nop 0
	buffer_store_dword v39, off, s[52:55], 0 offset:472 ; 4-byte Folded Spill
	buffer_store_dword v40, off, s[52:55], 0 offset:476 ; 4-byte Folded Spill
	;; [unrolled: 1-line block ×3, first 2 shown]
	v_fma_f64 v[68:69], v[60:61], v[38:39], v[36:37]
	s_waitcnt vmcnt(4) lgkmcnt(12)
	v_mul_f64 v[36:37], v[66:67], v[44:45]
	v_fma_f64 v[52:53], v[64:65], v[42:43], -v[36:37]
	v_mul_f64 v[36:37], v[64:65], v[44:45]
	buffer_store_dword v42, off, s[52:55], 0 offset:484 ; 4-byte Folded Spill
	s_nop 0
	buffer_store_dword v43, off, s[52:55], 0 offset:488 ; 4-byte Folded Spill
	buffer_store_dword v44, off, s[52:55], 0 offset:492 ; 4-byte Folded Spill
	;; [unrolled: 1-line block ×3, first 2 shown]
	v_fma_f64 v[76:77], v[66:67], v[42:43], v[36:37]
	v_add_u32_e32 v36, 0x2220, v107
	v_add_co_u32_e64 v38, s[0:1], s4, v36
	v_addc_co_u32_e64 v39, s[0:1], 0, v111, s[0:1]
	v_add_co_u32_e64 v36, s[0:1], s2, v38
	v_addc_co_u32_e64 v37, s[0:1], 0, v39, s[0:1]
	;; [unrolled: 2-line block ×3, first 2 shown]
	global_load_dwordx4 v[58:61], v[38:39], off offset:1792
	s_nop 0
	global_load_dwordx4 v[38:41], v[36:37], off offset:16
	s_waitcnt vmcnt(1) lgkmcnt(10)
	v_mul_f64 v[36:37], v[226:227], v[60:61]
	v_fma_f64 v[42:43], v[224:225], v[58:59], -v[36:37]
	v_mul_f64 v[36:37], v[224:225], v[60:61]
	buffer_store_dword v58, off, s[52:55], 0 offset:516 ; 4-byte Folded Spill
	s_nop 0
	buffer_store_dword v59, off, s[52:55], 0 offset:520 ; 4-byte Folded Spill
	buffer_store_dword v60, off, s[52:55], 0 offset:524 ; 4-byte Folded Spill
	buffer_store_dword v61, off, s[52:55], 0 offset:528 ; 4-byte Folded Spill
	v_fma_f64 v[64:65], v[226:227], v[58:59], v[36:37]
	s_waitcnt vmcnt(4) lgkmcnt(9)
	v_mul_f64 v[36:37], v[230:231], v[40:41]
	v_fma_f64 v[48:49], v[228:229], v[38:39], -v[36:37]
	v_mul_f64 v[36:37], v[228:229], v[40:41]
	buffer_store_dword v38, off, s[52:55], 0 offset:500 ; 4-byte Folded Spill
	s_nop 0
	buffer_store_dword v39, off, s[52:55], 0 offset:504 ; 4-byte Folded Spill
	buffer_store_dword v40, off, s[52:55], 0 offset:508 ; 4-byte Folded Spill
	;; [unrolled: 1-line block ×3, first 2 shown]
	v_fma_f64 v[72:73], v[230:231], v[38:39], v[36:37]
	v_add_u32_e32 v36, 0x2d80, v107
	v_add_co_u32_e64 v38, s[0:1], s4, v36
	v_addc_co_u32_e64 v39, s[0:1], 0, v111, s[0:1]
	v_add_co_u32_e64 v36, s[0:1], s2, v38
	v_addc_co_u32_e64 v37, s[0:1], 0, v39, s[0:1]
	;; [unrolled: 2-line block ×3, first 2 shown]
	global_load_dwordx4 v[224:227], v[38:39], off offset:1792
	global_load_dwordx4 v[80:83], v[36:37], off offset:16
	s_waitcnt vmcnt(1) lgkmcnt(7)
	v_mul_f64 v[36:37], v[234:235], v[226:227]
	v_fma_f64 v[38:39], v[232:233], v[224:225], -v[36:37]
	v_mul_f64 v[36:37], v[232:233], v[226:227]
	v_fma_f64 v[58:59], v[234:235], v[224:225], v[36:37]
	s_waitcnt vmcnt(0) lgkmcnt(6)
	v_mul_f64 v[36:37], v[238:239], v[82:83]
	v_fma_f64 v[44:45], v[236:237], v[80:81], -v[36:37]
	v_mul_f64 v[36:37], v[236:237], v[82:83]
	buffer_store_dword v80, off, s[52:55], 0 offset:532 ; 4-byte Folded Spill
	s_nop 0
	buffer_store_dword v81, off, s[52:55], 0 offset:536 ; 4-byte Folded Spill
	buffer_store_dword v82, off, s[52:55], 0 offset:540 ; 4-byte Folded Spill
	;; [unrolled: 1-line block ×3, first 2 shown]
	v_fma_f64 v[66:67], v[238:239], v[80:81], v[36:37]
	v_add_u32_e32 v36, 0x38e0, v107
	v_add_co_u32_e64 v40, s[0:1], s4, v36
	v_addc_co_u32_e64 v41, s[0:1], 0, v111, s[0:1]
	v_add_co_u32_e64 v36, s[0:1], s2, v40
	v_addc_co_u32_e64 v37, s[0:1], 0, v41, s[0:1]
	;; [unrolled: 2-line block ×3, first 2 shown]
	global_load_dwordx4 v[228:231], v[40:41], off offset:1792
	global_load_dwordx4 v[234:237], v[36:37], off offset:16
	v_add_u32_e32 v80, 0x4440, v107
	v_add_co_u32_e64 v82, s[0:1], s4, v80
	v_addc_co_u32_e64 v83, s[0:1], 0, v111, s[0:1]
	v_add_co_u32_e64 v80, s[0:1], s2, v82
	v_addc_co_u32_e64 v81, s[0:1], 0, v83, s[0:1]
	;; [unrolled: 2-line block ×3, first 2 shown]
	s_mov_b32 s0, 0xe8584caa
	s_mov_b32 s1, 0x3febb67a
	;; [unrolled: 1-line block ×3, first 2 shown]
	s_movk_i32 s4, 0x7000
	s_waitcnt vmcnt(1) lgkmcnt(4)
	v_mul_f64 v[36:37], v[242:243], v[230:231]
	v_mul_f64 v[40:41], v[240:241], v[230:231]
	s_waitcnt vmcnt(0) lgkmcnt(3)
	v_mul_f64 v[60:61], v[244:245], v[236:237]
	v_fma_f64 v[36:37], v[240:241], v[228:229], -v[36:37]
	global_load_dwordx4 v[238:241], v[82:83], off offset:1792
	global_load_dwordx4 v[196:199], v[80:81], off offset:16
	v_fma_f64 v[54:55], v[242:243], v[228:229], v[40:41]
	v_mul_f64 v[40:41], v[246:247], v[236:237]
	v_fma_f64 v[60:61], v[246:247], v[234:235], v[60:61]
	v_fma_f64 v[40:41], v[244:245], v[234:235], -v[40:41]
	s_waitcnt vmcnt(1) lgkmcnt(1)
	v_mul_f64 v[80:81], v[34:35], v[240:241]
	v_fma_f64 v[82:83], v[32:33], v[238:239], -v[80:81]
	v_mul_f64 v[32:33], v[32:33], v[240:241]
	v_fma_f64 v[110:111], v[34:35], v[238:239], v[32:33]
	s_waitcnt vmcnt(0) lgkmcnt(0)
	v_mul_f64 v[32:33], v[30:31], v[198:199]
	v_add_f64 v[34:35], v[84:85], v[86:87]
	v_fma_f64 v[101:102], v[28:29], v[196:197], -v[32:33]
	v_mul_f64 v[28:29], v[28:29], v[198:199]
	v_add_f64 v[32:33], v[84:85], -v[86:87]
	v_fma_f64 v[34:35], v[34:35], -0.5, v[26:27]
	v_fma_f64 v[112:113], v[30:31], v[196:197], v[28:29]
	v_add_f64 v[30:31], v[62:63], v[70:71]
	v_add_f64 v[28:29], v[24:25], v[62:63]
	v_add_f64 v[62:63], v[62:63], -v[70:71]
	v_fma_f64 v[30:31], v[30:31], -0.5, v[24:25]
	v_add_f64 v[28:29], v[28:29], v[70:71]
	v_fma_f64 v[24:25], v[32:33], s[0:1], v[30:31]
	v_fma_f64 v[32:33], v[32:33], s[2:3], v[30:31]
	v_add_f64 v[30:31], v[26:27], v[84:85]
	v_fma_f64 v[26:27], v[62:63], s[2:3], v[34:35]
	v_fma_f64 v[34:35], v[62:63], s[0:1], v[34:35]
	v_add_f64 v[62:63], v[20:21], v[50:51]
	v_add_f64 v[30:31], v[30:31], v[86:87]
	;; [unrolled: 1-line block ×4, first 2 shown]
	v_fma_f64 v[20:21], v[62:63], -0.5, v[20:21]
	v_add_f64 v[62:63], v[74:75], -v[78:79]
	v_fma_f64 v[96:97], v[62:63], s[0:1], v[20:21]
	v_fma_f64 v[92:93], v[62:63], s[2:3], v[20:21]
	v_add_f64 v[20:21], v[22:23], v[74:75]
	v_add_f64 v[86:87], v[20:21], v[78:79]
	;; [unrolled: 1-line block ×3, first 2 shown]
	v_fma_f64 v[20:21], v[20:21], -0.5, v[22:23]
	v_add_f64 v[22:23], v[50:51], -v[56:57]
	v_fma_f64 v[98:99], v[22:23], s[2:3], v[20:21]
	v_fma_f64 v[94:95], v[22:23], s[0:1], v[20:21]
	v_add_f64 v[20:21], v[12:13], v[46:47]
	v_add_f64 v[22:23], v[110:111], v[112:113]
	v_add_f64 v[78:79], v[20:21], v[52:53]
	v_add_f64 v[20:21], v[46:47], v[52:53]
	v_fma_f64 v[22:23], v[22:23], -0.5, v[18:19]
	v_fma_f64 v[12:13], v[20:21], -0.5, v[12:13]
	v_add_f64 v[20:21], v[68:69], -v[76:77]
	v_fma_f64 v[50:51], v[20:21], s[0:1], v[12:13]
	v_fma_f64 v[74:75], v[20:21], s[2:3], v[12:13]
	v_add_f64 v[12:13], v[14:15], v[68:69]
	v_add_f64 v[20:21], v[110:111], -v[112:113]
	v_add_f64 v[80:81], v[12:13], v[76:77]
	v_add_f64 v[12:13], v[68:69], v[76:77]
	v_fma_f64 v[12:13], v[12:13], -0.5, v[14:15]
	v_add_f64 v[14:15], v[46:47], -v[52:53]
	v_fma_f64 v[52:53], v[14:15], s[2:3], v[12:13]
	v_fma_f64 v[76:77], v[14:15], s[0:1], v[12:13]
	v_add_f64 v[12:13], v[8:9], v[42:43]
	v_add_f64 v[14:15], v[82:83], v[101:102]
	v_add_f64 v[68:69], v[12:13], v[48:49]
	v_add_f64 v[12:13], v[42:43], v[48:49]
	v_fma_f64 v[14:15], v[14:15], -0.5, v[16:17]
	v_fma_f64 v[8:9], v[12:13], -0.5, v[8:9]
	v_add_f64 v[12:13], v[64:65], -v[72:73]
	v_fma_f64 v[46:47], v[12:13], s[0:1], v[8:9]
	v_fma_f64 v[62:63], v[12:13], s[2:3], v[8:9]
	v_add_f64 v[8:9], v[10:11], v[64:65]
	v_add_f64 v[12:13], v[36:37], -v[40:41]
	v_add_f64 v[70:71], v[8:9], v[72:73]
	v_add_f64 v[8:9], v[64:65], v[72:73]
	;; [unrolled: 17-line block ×3, first 2 shown]
	v_fma_f64 v[0:1], v[0:1], -0.5, v[2:3]
	v_add_f64 v[2:3], v[38:39], -v[44:45]
	v_fma_f64 v[250:251], v[2:3], s[2:3], v[0:1]
	v_fma_f64 v[244:245], v[2:3], s[0:1], v[0:1]
	v_add_f64 v[2:3], v[36:37], v[40:41]
	v_add_f64 v[0:1], v[4:5], v[36:37]
	v_add_f64 v[36:37], v[82:83], -v[101:102]
	v_fma_f64 v[2:3], v[2:3], -0.5, v[4:5]
	v_add_f64 v[0:1], v[0:1], v[40:41]
	v_fma_f64 v[4:5], v[8:9], s[0:1], v[2:3]
	v_fma_f64 v[8:9], v[8:9], s[2:3], v[2:3]
	v_add_f64 v[2:3], v[6:7], v[54:55]
	v_fma_f64 v[6:7], v[12:13], s[2:3], v[10:11]
	v_fma_f64 v[10:11], v[12:13], s[0:1], v[10:11]
	;; [unrolled: 3-line block ×4, first 2 shown]
	s_movk_i32 s0, 0x7770
	v_add_f64 v[2:3], v[2:3], v[60:61]
	v_add_f64 v[12:13], v[12:13], v[101:102]
	;; [unrolled: 1-line block ×3, first 2 shown]
	ds_write_b128 v108, v[28:31]
	ds_write_b128 v108, v[24:27] offset:10192
	ds_write_b128 v108, v[32:35] offset:20384
	;; [unrolled: 1-line block ×20, first 2 shown]
	v_add_co_u32_e64 v24, s[0:1], s0, v104
	v_addc_co_u32_e64 v25, s[0:1], 0, v106, s[0:1]
	v_add_co_u32_e64 v30, s[0:1], s4, v104
	v_addc_co_u32_e64 v31, s[0:1], 0, v106, s[0:1]
	s_waitcnt lgkmcnt(0)
	s_barrier
	global_load_dwordx4 v[30:33], v[30:31], off offset:1904
	ds_read_b128 v[26:29], v108
	s_mov_b32 s0, 0x8000
	s_waitcnt vmcnt(0) lgkmcnt(0)
	v_mul_f64 v[34:35], v[28:29], v[32:33]
	v_fma_f64 v[34:35], v[26:27], v[30:31], -v[34:35]
	v_mul_f64 v[26:27], v[26:27], v[32:33]
	v_fma_f64 v[36:37], v[28:29], v[30:31], v[26:27]
	global_load_dwordx4 v[30:33], v[24:25], off offset:2352
	ds_read_b128 v[26:29], v108 offset:2352
	ds_write_b128 v108, v[34:37]
	s_waitcnt vmcnt(0) lgkmcnt(1)
	v_mul_f64 v[34:35], v[28:29], v[32:33]
	v_fma_f64 v[34:35], v[26:27], v[30:31], -v[34:35]
	v_mul_f64 v[26:27], v[26:27], v[32:33]
	v_fma_f64 v[36:37], v[28:29], v[30:31], v[26:27]
	v_add_co_u32_e64 v30, s[0:1], s0, v104
	v_addc_co_u32_e64 v31, s[0:1], 0, v106, s[0:1]
	global_load_dwordx4 v[30:33], v[30:31], off offset:2512
	ds_read_b128 v[26:29], v108 offset:4704
	s_mov_b32 s0, 0x9000
	ds_write_b128 v108, v[34:37] offset:2352
	v_add_co_u32_e64 v38, s[0:1], s0, v104
	v_addc_co_u32_e64 v39, s[0:1], 0, v106, s[0:1]
	s_mov_b32 s0, 0xa000
	s_waitcnt vmcnt(0) lgkmcnt(1)
	v_mul_f64 v[34:35], v[28:29], v[32:33]
	v_fma_f64 v[34:35], v[26:27], v[30:31], -v[34:35]
	v_mul_f64 v[26:27], v[26:27], v[32:33]
	v_fma_f64 v[36:37], v[28:29], v[30:31], v[26:27]
	global_load_dwordx4 v[30:33], v[38:39], off offset:768
	ds_read_b128 v[26:29], v108 offset:7056
	ds_write_b128 v108, v[34:37] offset:4704
	s_waitcnt vmcnt(0) lgkmcnt(1)
	v_mul_f64 v[34:35], v[28:29], v[32:33]
	v_fma_f64 v[34:35], v[26:27], v[30:31], -v[34:35]
	v_mul_f64 v[26:27], v[26:27], v[32:33]
	v_fma_f64 v[36:37], v[28:29], v[30:31], v[26:27]
	global_load_dwordx4 v[30:33], v[38:39], off offset:3120
	ds_read_b128 v[26:29], v108 offset:9408
	v_add_co_u32_e64 v38, s[0:1], s0, v104
	v_addc_co_u32_e64 v39, s[0:1], 0, v106, s[0:1]
	s_mov_b32 s0, 0xb000
	ds_write_b128 v108, v[34:37] offset:7056
	s_waitcnt vmcnt(0) lgkmcnt(1)
	v_mul_f64 v[34:35], v[28:29], v[32:33]
	v_fma_f64 v[34:35], v[26:27], v[30:31], -v[34:35]
	v_mul_f64 v[26:27], v[26:27], v[32:33]
	v_fma_f64 v[36:37], v[28:29], v[30:31], v[26:27]
	global_load_dwordx4 v[30:33], v[38:39], off offset:1376
	ds_read_b128 v[26:29], v108 offset:11760
	ds_write_b128 v108, v[34:37] offset:9408
	s_waitcnt vmcnt(0) lgkmcnt(1)
	v_mul_f64 v[34:35], v[28:29], v[32:33]
	v_fma_f64 v[34:35], v[26:27], v[30:31], -v[34:35]
	v_mul_f64 v[26:27], v[26:27], v[32:33]
	v_fma_f64 v[36:37], v[28:29], v[30:31], v[26:27]
	global_load_dwordx4 v[30:33], v[38:39], off offset:3728
	ds_read_b128 v[26:29], v108 offset:14112
	ds_write_b128 v108, v[34:37] offset:11760
	s_waitcnt vmcnt(0) lgkmcnt(1)
	v_mul_f64 v[34:35], v[28:29], v[32:33]
	v_fma_f64 v[34:35], v[26:27], v[30:31], -v[34:35]
	v_mul_f64 v[26:27], v[26:27], v[32:33]
	v_fma_f64 v[36:37], v[28:29], v[30:31], v[26:27]
	v_add_co_u32_e64 v30, s[0:1], s0, v104
	v_addc_co_u32_e64 v31, s[0:1], 0, v106, s[0:1]
	global_load_dwordx4 v[30:33], v[30:31], off offset:1984
	ds_read_b128 v[26:29], v108 offset:16464
	s_mov_b32 s0, 0xc000
	ds_write_b128 v108, v[34:37] offset:14112
	v_add_co_u32_e64 v38, s[0:1], s0, v104
	v_addc_co_u32_e64 v39, s[0:1], 0, v106, s[0:1]
	s_mov_b32 s0, 0xd000
	s_waitcnt vmcnt(0) lgkmcnt(1)
	v_mul_f64 v[34:35], v[28:29], v[32:33]
	v_fma_f64 v[34:35], v[26:27], v[30:31], -v[34:35]
	v_mul_f64 v[26:27], v[26:27], v[32:33]
	v_fma_f64 v[36:37], v[28:29], v[30:31], v[26:27]
	global_load_dwordx4 v[30:33], v[38:39], off offset:240
	ds_read_b128 v[26:29], v108 offset:18816
	ds_write_b128 v108, v[34:37] offset:16464
	s_waitcnt vmcnt(0) lgkmcnt(1)
	v_mul_f64 v[34:35], v[28:29], v[32:33]
	v_fma_f64 v[34:35], v[26:27], v[30:31], -v[34:35]
	v_mul_f64 v[26:27], v[26:27], v[32:33]
	v_fma_f64 v[36:37], v[28:29], v[30:31], v[26:27]
	global_load_dwordx4 v[30:33], v[38:39], off offset:2592
	ds_read_b128 v[26:29], v108 offset:21168
	v_add_co_u32_e64 v38, s[0:1], s0, v104
	v_addc_co_u32_e64 v39, s[0:1], 0, v106, s[0:1]
	s_mov_b32 s0, 0xe000
	ds_write_b128 v108, v[34:37] offset:18816
	s_waitcnt vmcnt(0) lgkmcnt(1)
	v_mul_f64 v[34:35], v[28:29], v[32:33]
	v_fma_f64 v[34:35], v[26:27], v[30:31], -v[34:35]
	v_mul_f64 v[26:27], v[26:27], v[32:33]
	v_fma_f64 v[36:37], v[28:29], v[30:31], v[26:27]
	global_load_dwordx4 v[30:33], v[38:39], off offset:848
	ds_read_b128 v[26:29], v108 offset:23520
	ds_write_b128 v108, v[34:37] offset:21168
	s_waitcnt vmcnt(0) lgkmcnt(1)
	v_mul_f64 v[34:35], v[28:29], v[32:33]
	v_fma_f64 v[34:35], v[26:27], v[30:31], -v[34:35]
	v_mul_f64 v[26:27], v[26:27], v[32:33]
	v_fma_f64 v[36:37], v[28:29], v[30:31], v[26:27]
	global_load_dwordx4 v[30:33], v[38:39], off offset:3200
	ds_read_b128 v[26:29], v108 offset:25872
	ds_write_b128 v108, v[34:37] offset:23520
	s_waitcnt vmcnt(0) lgkmcnt(1)
	v_mul_f64 v[34:35], v[28:29], v[32:33]
	v_fma_f64 v[34:35], v[26:27], v[30:31], -v[34:35]
	v_mul_f64 v[26:27], v[26:27], v[32:33]
	v_fma_f64 v[36:37], v[28:29], v[30:31], v[26:27]
	v_add_co_u32_e64 v30, s[0:1], s0, v104
	v_addc_co_u32_e64 v31, s[0:1], 0, v106, s[0:1]
	global_load_dwordx4 v[30:33], v[30:31], off offset:1456
	ds_read_b128 v[26:29], v108 offset:28224
	ds_write_b128 v108, v[34:37] offset:25872
	s_waitcnt vmcnt(0) lgkmcnt(1)
	v_mul_f64 v[34:35], v[28:29], v[32:33]
	v_fma_f64 v[34:35], v[26:27], v[30:31], -v[34:35]
	v_mul_f64 v[26:27], v[26:27], v[32:33]
	v_fma_f64 v[36:37], v[28:29], v[30:31], v[26:27]
	ds_write_b128 v108, v[34:37] offset:28224
	s_and_saveexec_b64 s[2:3], vcc
	s_cbranch_execz .LBB0_9
; %bb.8:
	global_load_dwordx4 v[30:33], v[24:25], off offset:1456
	ds_read_b128 v[26:29], v108 offset:1456
	s_movk_i32 s0, 0x1000
	s_waitcnt vmcnt(0) lgkmcnt(0)
	v_mul_f64 v[34:35], v[28:29], v[32:33]
	v_fma_f64 v[34:35], v[26:27], v[30:31], -v[34:35]
	v_mul_f64 v[26:27], v[26:27], v[32:33]
	v_fma_f64 v[36:37], v[28:29], v[30:31], v[26:27]
	global_load_dwordx4 v[30:33], v[24:25], off offset:3808
	ds_read_b128 v[26:29], v108 offset:3808
	ds_write_b128 v108, v[34:37] offset:1456
	s_waitcnt vmcnt(0) lgkmcnt(1)
	v_mul_f64 v[34:35], v[28:29], v[32:33]
	v_fma_f64 v[34:35], v[26:27], v[30:31], -v[34:35]
	v_mul_f64 v[26:27], v[26:27], v[32:33]
	v_fma_f64 v[36:37], v[28:29], v[30:31], v[26:27]
	v_add_co_u32_e64 v30, s[0:1], s0, v24
	v_addc_co_u32_e64 v31, s[0:1], 0, v25, s[0:1]
	global_load_dwordx4 v[30:33], v[30:31], off offset:2064
	ds_read_b128 v[26:29], v108 offset:6160
	v_add_co_u32_e64 v38, s[0:1], s5, v24
	ds_write_b128 v108, v[34:37] offset:3808
	v_addc_co_u32_e64 v39, s[0:1], 0, v25, s[0:1]
	s_movk_i32 s0, 0x3000
	s_waitcnt vmcnt(0) lgkmcnt(1)
	v_mul_f64 v[34:35], v[28:29], v[32:33]
	v_fma_f64 v[34:35], v[26:27], v[30:31], -v[34:35]
	v_mul_f64 v[26:27], v[26:27], v[32:33]
	v_fma_f64 v[36:37], v[28:29], v[30:31], v[26:27]
	global_load_dwordx4 v[30:33], v[38:39], off offset:320
	ds_read_b128 v[26:29], v108 offset:8512
	ds_write_b128 v108, v[34:37] offset:6160
	s_waitcnt vmcnt(0) lgkmcnt(1)
	v_mul_f64 v[34:35], v[28:29], v[32:33]
	v_fma_f64 v[34:35], v[26:27], v[30:31], -v[34:35]
	v_mul_f64 v[26:27], v[26:27], v[32:33]
	v_fma_f64 v[36:37], v[28:29], v[30:31], v[26:27]
	global_load_dwordx4 v[30:33], v[38:39], off offset:2672
	ds_read_b128 v[26:29], v108 offset:10864
	v_add_co_u32_e64 v38, s[0:1], s0, v24
	v_addc_co_u32_e64 v39, s[0:1], 0, v25, s[0:1]
	s_movk_i32 s0, 0x4000
	ds_write_b128 v108, v[34:37] offset:8512
	s_waitcnt vmcnt(0) lgkmcnt(1)
	v_mul_f64 v[34:35], v[28:29], v[32:33]
	v_fma_f64 v[34:35], v[26:27], v[30:31], -v[34:35]
	v_mul_f64 v[26:27], v[26:27], v[32:33]
	v_fma_f64 v[36:37], v[28:29], v[30:31], v[26:27]
	global_load_dwordx4 v[30:33], v[38:39], off offset:928
	ds_read_b128 v[26:29], v108 offset:13216
	ds_write_b128 v108, v[34:37] offset:10864
	s_waitcnt vmcnt(0) lgkmcnt(1)
	v_mul_f64 v[34:35], v[28:29], v[32:33]
	v_fma_f64 v[34:35], v[26:27], v[30:31], -v[34:35]
	v_mul_f64 v[26:27], v[26:27], v[32:33]
	v_fma_f64 v[36:37], v[28:29], v[30:31], v[26:27]
	global_load_dwordx4 v[30:33], v[38:39], off offset:3280
	ds_read_b128 v[26:29], v108 offset:15568
	v_add_co_u32_e64 v38, s[0:1], s0, v24
	v_addc_co_u32_e64 v39, s[0:1], 0, v25, s[0:1]
	s_movk_i32 s0, 0x5000
	ds_write_b128 v108, v[34:37] offset:13216
	s_waitcnt vmcnt(0) lgkmcnt(1)
	v_mul_f64 v[34:35], v[28:29], v[32:33]
	v_fma_f64 v[34:35], v[26:27], v[30:31], -v[34:35]
	v_mul_f64 v[26:27], v[26:27], v[32:33]
	v_fma_f64 v[36:37], v[28:29], v[30:31], v[26:27]
	global_load_dwordx4 v[30:33], v[38:39], off offset:1536
	ds_read_b128 v[26:29], v108 offset:17920
	ds_write_b128 v108, v[34:37] offset:15568
	s_waitcnt vmcnt(0) lgkmcnt(1)
	v_mul_f64 v[34:35], v[28:29], v[32:33]
	v_fma_f64 v[34:35], v[26:27], v[30:31], -v[34:35]
	v_mul_f64 v[26:27], v[26:27], v[32:33]
	v_fma_f64 v[36:37], v[28:29], v[30:31], v[26:27]
	global_load_dwordx4 v[30:33], v[38:39], off offset:3888
	ds_read_b128 v[26:29], v108 offset:20272
	ds_write_b128 v108, v[34:37] offset:17920
	s_waitcnt vmcnt(0) lgkmcnt(1)
	v_mul_f64 v[34:35], v[28:29], v[32:33]
	v_fma_f64 v[34:35], v[26:27], v[30:31], -v[34:35]
	v_mul_f64 v[26:27], v[26:27], v[32:33]
	v_fma_f64 v[36:37], v[28:29], v[30:31], v[26:27]
	v_add_co_u32_e64 v30, s[0:1], s0, v24
	v_addc_co_u32_e64 v31, s[0:1], 0, v25, s[0:1]
	global_load_dwordx4 v[30:33], v[30:31], off offset:2144
	ds_read_b128 v[26:29], v108 offset:22624
	s_movk_i32 s0, 0x6000
	ds_write_b128 v108, v[34:37] offset:20272
	v_add_co_u32_e64 v38, s[0:1], s0, v24
	v_addc_co_u32_e64 v39, s[0:1], 0, v25, s[0:1]
	v_add_co_u32_e64 v24, s[0:1], s4, v24
	v_addc_co_u32_e64 v25, s[0:1], 0, v25, s[0:1]
	s_waitcnt vmcnt(0) lgkmcnt(1)
	v_mul_f64 v[34:35], v[28:29], v[32:33]
	v_fma_f64 v[34:35], v[26:27], v[30:31], -v[34:35]
	v_mul_f64 v[26:27], v[26:27], v[32:33]
	v_fma_f64 v[36:37], v[28:29], v[30:31], v[26:27]
	global_load_dwordx4 v[30:33], v[38:39], off offset:400
	ds_read_b128 v[26:29], v108 offset:24976
	ds_write_b128 v108, v[34:37] offset:22624
	s_waitcnt vmcnt(0) lgkmcnt(1)
	v_mul_f64 v[34:35], v[28:29], v[32:33]
	v_fma_f64 v[34:35], v[26:27], v[30:31], -v[34:35]
	v_mul_f64 v[26:27], v[26:27], v[32:33]
	v_fma_f64 v[36:37], v[28:29], v[30:31], v[26:27]
	global_load_dwordx4 v[30:33], v[38:39], off offset:2752
	ds_read_b128 v[26:29], v108 offset:27328
	ds_write_b128 v108, v[34:37] offset:24976
	;; [unrolled: 8-line block ×3, first 2 shown]
	s_waitcnt vmcnt(0) lgkmcnt(1)
	v_mul_f64 v[24:25], v[28:29], v[32:33]
	v_fma_f64 v[24:25], v[26:27], v[30:31], -v[24:25]
	v_mul_f64 v[26:27], v[26:27], v[32:33]
	v_fma_f64 v[26:27], v[28:29], v[30:31], v[26:27]
	ds_write_b128 v108, v[24:27] offset:29680
.LBB0_9:
	s_or_b64 exec, exec, s[2:3]
	s_waitcnt lgkmcnt(0)
	s_barrier
	ds_read_b128 v[68:71], v108
	ds_read_b128 v[72:75], v108 offset:2352
	ds_read_b128 v[60:63], v108 offset:4704
	;; [unrolled: 1-line block ×12, first 2 shown]
	s_and_saveexec_b64 s[0:1], vcc
	s_cbranch_execz .LBB0_11
; %bb.10:
	ds_read_b128 v[248:251], v108 offset:1456
	ds_read_b128 v[242:245], v108 offset:3808
	ds_read_b128 v[0:3], v108 offset:6160
	ds_read_b128 v[4:7], v108 offset:8512
	ds_read_b128 v[8:11], v108 offset:10864
	ds_read_b128 v[12:15], v108 offset:13216
	ds_read_b128 v[16:19], v108 offset:15568
	ds_read_b128 v[20:23], v108 offset:17920
	ds_read_b128 v[32:35], v108 offset:20272
	s_waitcnt lgkmcnt(0)
	buffer_store_dword v32, off, s[52:55], 0 offset:68 ; 4-byte Folded Spill
	s_nop 0
	buffer_store_dword v33, off, s[52:55], 0 offset:72 ; 4-byte Folded Spill
	buffer_store_dword v34, off, s[52:55], 0 offset:76 ; 4-byte Folded Spill
	buffer_store_dword v35, off, s[52:55], 0 offset:80 ; 4-byte Folded Spill
	ds_read_b128 v[32:35], v108 offset:22624
	s_waitcnt lgkmcnt(0)
	buffer_store_dword v32, off, s[52:55], 0 offset:52 ; 4-byte Folded Spill
	s_nop 0
	buffer_store_dword v33, off, s[52:55], 0 offset:56 ; 4-byte Folded Spill
	buffer_store_dword v34, off, s[52:55], 0 offset:60 ; 4-byte Folded Spill
	buffer_store_dword v35, off, s[52:55], 0 offset:64 ; 4-byte Folded Spill
	ds_read_b128 v[32:35], v108 offset:24976
	;; [unrolled: 7-line block ×4, first 2 shown]
	s_waitcnt lgkmcnt(0)
	buffer_store_dword v32, off, s[52:55], 0 offset:4 ; 4-byte Folded Spill
	s_nop 0
	buffer_store_dword v33, off, s[52:55], 0 offset:8 ; 4-byte Folded Spill
	buffer_store_dword v34, off, s[52:55], 0 offset:12 ; 4-byte Folded Spill
	;; [unrolled: 1-line block ×3, first 2 shown]
.LBB0_11:
	s_or_b64 exec, exec, s[0:1]
	s_waitcnt lgkmcnt(11)
	v_add_f64 v[32:33], v[68:69], v[72:73]
	v_add_f64 v[34:35], v[70:71], v[74:75]
	s_waitcnt lgkmcnt(0)
	v_add_f64 v[82:83], v[74:75], v[78:79]
	v_add_f64 v[74:75], v[74:75], -v[78:79]
	s_mov_b32 s2, 0x4267c47c
	s_mov_b32 s12, 0x42a4c3d2
	;; [unrolled: 1-line block ×4, first 2 shown]
	v_add_f64 v[32:33], v[32:33], v[60:61]
	v_add_f64 v[34:35], v[34:35], v[62:63]
	s_mov_b32 s26, 0x24c2f84
	s_mov_b32 s34, 0x4bc48dbf
	;; [unrolled: 1-line block ×6, first 2 shown]
	v_add_f64 v[32:33], v[32:33], v[52:53]
	v_add_f64 v[34:35], v[34:35], v[54:55]
	s_mov_b32 s27, 0xbfe5384d
	s_mov_b32 s35, 0xbfcea1e5
	v_add_f64 v[80:81], v[72:73], v[76:77]
	v_add_f64 v[72:73], v[72:73], -v[76:77]
	v_mul_f64 v[88:89], v[74:75], s[12:13]
	v_mul_f64 v[96:97], v[74:75], s[16:17]
	v_add_f64 v[32:33], v[32:33], v[44:45]
	v_add_f64 v[34:35], v[34:35], v[46:47]
	v_mul_f64 v[110:111], v[74:75], s[20:21]
	v_mul_f64 v[118:119], v[74:75], s[26:27]
	s_mov_b32 s0, 0xe00740e9
	s_mov_b32 s4, 0x1ea71119
	;; [unrolled: 1-line block ×4, first 2 shown]
	v_add_f64 v[32:33], v[32:33], v[36:37]
	v_add_f64 v[34:35], v[34:35], v[38:39]
	s_mov_b32 s22, 0xd0032e0c
	s_mov_b32 s30, 0x93053d00
	;; [unrolled: 1-line block ×6, first 2 shown]
	v_add_f64 v[32:33], v[32:33], v[24:25]
	v_add_f64 v[34:35], v[34:35], v[26:27]
	s_mov_b32 s23, 0xbfe7f3cc
	s_mov_b32 s31, 0xbfef11f4
	v_mul_f64 v[84:85], v[82:83], s[0:1]
	v_fma_f64 v[90:91], v[80:81], s[4:5], v[88:89]
	v_mul_f64 v[92:93], v[82:83], s[4:5]
	v_fma_f64 v[88:89], v[80:81], s[4:5], -v[88:89]
	v_add_f64 v[32:33], v[32:33], v[28:29]
	v_add_f64 v[34:35], v[34:35], v[30:31]
	v_fma_f64 v[98:99], v[80:81], s[14:15], v[96:97]
	v_mul_f64 v[101:102], v[82:83], s[14:15]
	v_fma_f64 v[96:97], v[80:81], s[14:15], -v[96:97]
	v_fma_f64 v[112:113], v[80:81], s[18:19], v[110:111]
	v_mul_f64 v[114:115], v[82:83], s[18:19]
	v_fma_f64 v[110:111], v[80:81], s[18:19], -v[110:111]
	v_add_f64 v[32:33], v[32:33], v[40:41]
	v_add_f64 v[34:35], v[34:35], v[42:43]
	v_fma_f64 v[120:121], v[80:81], s[22:23], v[118:119]
	v_mul_f64 v[122:123], v[82:83], s[22:23]
	v_fma_f64 v[118:119], v[80:81], s[22:23], -v[118:119]
	v_mul_f64 v[82:83], v[82:83], s[30:31]
	s_mov_b32 s25, 0x3fddbe06
	s_mov_b32 s24, s2
	v_add_f64 v[32:33], v[32:33], v[48:49]
	v_add_f64 v[34:35], v[34:35], v[50:51]
	s_mov_b32 s37, 0x3fea55e2
	s_mov_b32 s36, s12
	;; [unrolled: 1-line block ×6, first 2 shown]
	v_add_f64 v[32:33], v[32:33], v[56:57]
	v_add_f64 v[34:35], v[34:35], v[58:59]
	s_mov_b32 s41, 0x3fe5384d
	s_mov_b32 s40, s26
	;; [unrolled: 1-line block ×4, first 2 shown]
	v_fma_f64 v[86:87], v[72:73], s[24:25], v[84:85]
	v_fma_f64 v[84:85], v[72:73], s[2:3], v[84:85]
	v_add_f64 v[32:33], v[32:33], v[64:65]
	v_add_f64 v[34:35], v[34:35], v[66:67]
	;; [unrolled: 1-line block ×3, first 2 shown]
	v_fma_f64 v[94:95], v[72:73], s[36:37], v[92:93]
	v_add_f64 v[88:89], v[68:69], v[88:89]
	v_fma_f64 v[92:93], v[72:73], s[12:13], v[92:93]
	v_add_f64 v[98:99], v[68:69], v[98:99]
	;; [unrolled: 2-line block ×3, first 2 shown]
	v_mul_f64 v[76:77], v[74:75], s[2:3]
	v_mul_f64 v[74:75], v[74:75], s[34:35]
	v_add_f64 v[34:35], v[34:35], v[78:79]
	v_add_f64 v[96:97], v[68:69], v[96:97]
	v_fma_f64 v[101:102], v[72:73], s[16:17], v[101:102]
	v_add_f64 v[112:113], v[68:69], v[112:113]
	v_fma_f64 v[116:117], v[72:73], s[38:39], v[114:115]
	;; [unrolled: 2-line block ×3, first 2 shown]
	v_fma_f64 v[76:77], v[80:81], s[0:1], -v[76:77]
	v_fma_f64 v[126:127], v[80:81], s[30:31], v[74:75]
	v_fma_f64 v[74:75], v[80:81], s[30:31], -v[74:75]
	v_fma_f64 v[114:115], v[72:73], s[20:21], v[114:115]
	v_add_f64 v[120:121], v[68:69], v[120:121]
	v_fma_f64 v[124:125], v[72:73], s[40:41], v[122:123]
	v_add_f64 v[118:119], v[68:69], v[118:119]
	v_add_f64 v[78:79], v[68:69], v[78:79]
	v_add_f64 v[76:77], v[68:69], v[76:77]
	v_fma_f64 v[122:123], v[72:73], s[26:27], v[122:123]
	v_add_f64 v[126:127], v[68:69], v[126:127]
	v_fma_f64 v[128:129], v[72:73], s[42:43], v[82:83]
	v_add_f64 v[68:69], v[68:69], v[74:75]
	;; [unrolled: 2-line block ×3, first 2 shown]
	v_add_f64 v[62:63], v[62:63], -v[66:67]
	v_add_f64 v[86:87], v[70:71], v[86:87]
	v_add_f64 v[84:85], v[70:71], v[84:85]
	v_add_f64 v[94:95], v[70:71], v[94:95]
	v_add_f64 v[92:93], v[70:71], v[92:93]
	v_add_f64 v[106:107], v[70:71], v[106:107]
	v_add_f64 v[101:102], v[70:71], v[101:102]
	v_add_f64 v[116:117], v[70:71], v[116:117]
	v_add_f64 v[114:115], v[70:71], v[114:115]
	v_add_f64 v[124:125], v[70:71], v[124:125]
	v_add_f64 v[122:123], v[70:71], v[122:123]
	v_add_f64 v[128:129], v[70:71], v[128:129]
	v_add_f64 v[70:71], v[70:71], v[72:73]
	v_add_f64 v[72:73], v[60:61], v[64:65]
	v_add_f64 v[60:61], v[60:61], -v[64:65]
	v_mul_f64 v[64:65], v[62:63], s[12:13]
	s_waitcnt vmcnt(0)
	s_barrier
	v_fma_f64 v[66:67], v[72:73], s[4:5], v[64:65]
	v_fma_f64 v[64:65], v[72:73], s[4:5], -v[64:65]
	v_add_f64 v[66:67], v[66:67], v[78:79]
	v_mul_f64 v[78:79], v[74:75], s[4:5]
	v_add_f64 v[64:65], v[64:65], v[76:77]
	v_fma_f64 v[80:81], v[60:61], s[36:37], v[78:79]
	v_fma_f64 v[76:77], v[60:61], s[12:13], v[78:79]
	v_mul_f64 v[78:79], v[62:63], s[20:21]
	v_add_f64 v[80:81], v[80:81], v[86:87]
	v_add_f64 v[76:77], v[76:77], v[84:85]
	v_fma_f64 v[82:83], v[72:73], s[18:19], v[78:79]
	v_mul_f64 v[84:85], v[74:75], s[18:19]
	v_fma_f64 v[78:79], v[72:73], s[18:19], -v[78:79]
	v_add_f64 v[82:83], v[82:83], v[90:91]
	v_fma_f64 v[86:87], v[60:61], s[38:39], v[84:85]
	v_add_f64 v[78:79], v[78:79], v[88:89]
	v_fma_f64 v[84:85], v[60:61], s[20:21], v[84:85]
	v_mul_f64 v[88:89], v[62:63], s[34:35]
	v_add_f64 v[86:87], v[86:87], v[94:95]
	v_add_f64 v[84:85], v[84:85], v[92:93]
	v_fma_f64 v[90:91], v[72:73], s[30:31], v[88:89]
	v_mul_f64 v[92:93], v[74:75], s[30:31]
	v_fma_f64 v[88:89], v[72:73], s[30:31], -v[88:89]
	v_add_f64 v[90:91], v[90:91], v[98:99]
	v_fma_f64 v[94:95], v[60:61], s[42:43], v[92:93]
	v_add_f64 v[88:89], v[88:89], v[96:97]
	;; [unrolled: 10-line block ×3, first 2 shown]
	v_fma_f64 v[101:102], v[60:61], s[40:41], v[101:102]
	v_mul_f64 v[110:111], v[62:63], s[28:29]
	v_mul_f64 v[62:63], v[62:63], s[24:25]
	v_add_f64 v[106:107], v[106:107], v[116:117]
	v_add_f64 v[101:102], v[101:102], v[114:115]
	v_fma_f64 v[112:113], v[72:73], s[14:15], v[110:111]
	v_mul_f64 v[114:115], v[74:75], s[14:15]
	v_mul_f64 v[74:75], v[74:75], s[0:1]
	v_fma_f64 v[110:111], v[72:73], s[14:15], -v[110:111]
	v_add_f64 v[112:113], v[112:113], v[120:121]
	v_fma_f64 v[116:117], v[60:61], s[16:17], v[114:115]
	v_fma_f64 v[114:115], v[60:61], s[28:29], v[114:115]
	;; [unrolled: 1-line block ×4, first 2 shown]
	v_add_f64 v[110:111], v[110:111], v[118:119]
	v_fma_f64 v[118:119], v[72:73], s[0:1], v[62:63]
	v_fma_f64 v[62:63], v[72:73], s[0:1], -v[62:63]
	v_add_f64 v[116:117], v[116:117], v[124:125]
	v_add_f64 v[114:115], v[114:115], v[122:123]
	;; [unrolled: 1-line block ×5, first 2 shown]
	v_add_f64 v[54:55], v[54:55], -v[58:59]
	v_add_f64 v[62:63], v[62:63], v[68:69]
	v_add_f64 v[68:69], v[52:53], v[56:57]
	v_add_f64 v[52:53], v[52:53], -v[56:57]
	v_add_f64 v[118:119], v[118:119], v[126:127]
	v_mul_f64 v[56:57], v[54:55], s[16:17]
	v_fma_f64 v[58:59], v[68:69], s[14:15], v[56:57]
	v_fma_f64 v[56:57], v[68:69], s[14:15], -v[56:57]
	v_add_f64 v[58:59], v[58:59], v[66:67]
	v_mul_f64 v[66:67], v[70:71], s[14:15]
	v_add_f64 v[56:57], v[56:57], v[64:65]
	v_fma_f64 v[72:73], v[52:53], s[28:29], v[66:67]
	v_fma_f64 v[64:65], v[52:53], s[16:17], v[66:67]
	v_mul_f64 v[66:67], v[54:55], s[34:35]
	v_add_f64 v[72:73], v[72:73], v[80:81]
	v_add_f64 v[64:65], v[64:65], v[76:77]
	v_fma_f64 v[74:75], v[68:69], s[30:31], v[66:67]
	v_fma_f64 v[66:67], v[68:69], s[30:31], -v[66:67]
	v_mul_f64 v[76:77], v[70:71], s[30:31]
	v_add_f64 v[74:75], v[74:75], v[82:83]
	v_add_f64 v[66:67], v[66:67], v[78:79]
	v_mul_f64 v[78:79], v[54:55], s[38:39]
	v_fma_f64 v[80:81], v[52:53], s[42:43], v[76:77]
	v_fma_f64 v[76:77], v[52:53], s[34:35], v[76:77]
	v_fma_f64 v[82:83], v[68:69], s[18:19], v[78:79]
	v_fma_f64 v[78:79], v[68:69], s[18:19], -v[78:79]
	v_add_f64 v[76:77], v[76:77], v[84:85]
	v_mul_f64 v[84:85], v[70:71], s[18:19]
	v_add_f64 v[80:81], v[80:81], v[86:87]
	v_add_f64 v[82:83], v[82:83], v[90:91]
	;; [unrolled: 1-line block ×3, first 2 shown]
	v_mul_f64 v[88:89], v[54:55], s[24:25]
	v_fma_f64 v[86:87], v[52:53], s[20:21], v[84:85]
	v_fma_f64 v[84:85], v[52:53], s[38:39], v[84:85]
	;; [unrolled: 1-line block ×3, first 2 shown]
	v_fma_f64 v[88:89], v[68:69], s[0:1], -v[88:89]
	v_add_f64 v[84:85], v[84:85], v[92:93]
	v_mul_f64 v[92:93], v[70:71], s[0:1]
	v_add_f64 v[86:87], v[86:87], v[94:95]
	v_add_f64 v[90:91], v[90:91], v[98:99]
	;; [unrolled: 1-line block ×3, first 2 shown]
	v_mul_f64 v[96:97], v[54:55], s[12:13]
	v_fma_f64 v[94:95], v[52:53], s[2:3], v[92:93]
	v_fma_f64 v[92:93], v[52:53], s[24:25], v[92:93]
	v_mul_f64 v[54:55], v[54:55], s[26:27]
	v_fma_f64 v[98:99], v[68:69], s[4:5], v[96:97]
	v_fma_f64 v[96:97], v[68:69], s[4:5], -v[96:97]
	v_add_f64 v[92:93], v[92:93], v[101:102]
	v_mul_f64 v[101:102], v[70:71], s[4:5]
	v_mul_f64 v[70:71], v[70:71], s[22:23]
	v_add_f64 v[94:95], v[94:95], v[106:107]
	v_add_f64 v[98:99], v[98:99], v[112:113]
	;; [unrolled: 1-line block ×3, first 2 shown]
	v_fma_f64 v[110:111], v[68:69], s[22:23], v[54:55]
	v_fma_f64 v[54:55], v[68:69], s[22:23], -v[54:55]
	v_fma_f64 v[106:107], v[52:53], s[36:37], v[101:102]
	v_fma_f64 v[101:102], v[52:53], s[12:13], v[101:102]
	;; [unrolled: 1-line block ×4, first 2 shown]
	v_add_f64 v[110:111], v[110:111], v[118:119]
	v_add_f64 v[54:55], v[54:55], v[62:63]
	;; [unrolled: 1-line block ×3, first 2 shown]
	v_add_f64 v[46:47], v[46:47], -v[50:51]
	v_add_f64 v[106:107], v[106:107], v[116:117]
	v_add_f64 v[52:53], v[52:53], v[60:61]
	v_add_f64 v[60:61], v[44:45], v[48:49]
	v_add_f64 v[44:45], v[44:45], -v[48:49]
	v_add_f64 v[112:113], v[112:113], v[120:121]
	v_add_f64 v[101:102], v[101:102], v[114:115]
	v_mul_f64 v[70:71], v[62:63], s[22:23]
	v_mul_f64 v[48:49], v[46:47], s[20:21]
	v_fma_f64 v[50:51], v[60:61], s[18:19], v[48:49]
	v_fma_f64 v[48:49], v[60:61], s[18:19], -v[48:49]
	v_add_f64 v[50:51], v[50:51], v[58:59]
	v_mul_f64 v[58:59], v[62:63], s[18:19]
	v_add_f64 v[48:49], v[48:49], v[56:57]
	v_fma_f64 v[68:69], v[44:45], s[38:39], v[58:59]
	v_fma_f64 v[56:57], v[44:45], s[20:21], v[58:59]
	v_mul_f64 v[58:59], v[46:47], s[40:41]
	v_add_f64 v[68:69], v[68:69], v[72:73]
	v_add_f64 v[56:57], v[56:57], v[64:65]
	v_fma_f64 v[64:65], v[60:61], s[22:23], v[58:59]
	v_fma_f64 v[58:59], v[60:61], s[22:23], -v[58:59]
	v_fma_f64 v[72:73], v[44:45], s[26:27], v[70:71]
	v_add_f64 v[64:65], v[64:65], v[74:75]
	v_add_f64 v[58:59], v[58:59], v[66:67]
	v_fma_f64 v[66:67], v[44:45], s[40:41], v[70:71]
	v_mul_f64 v[70:71], v[46:47], s[24:25]
	v_add_f64 v[72:73], v[72:73], v[80:81]
	v_add_f64 v[66:67], v[66:67], v[76:77]
	v_fma_f64 v[74:75], v[60:61], s[0:1], v[70:71]
	v_fma_f64 v[70:71], v[60:61], s[0:1], -v[70:71]
	v_mul_f64 v[76:77], v[62:63], s[0:1]
	v_add_f64 v[74:75], v[74:75], v[82:83]
	v_add_f64 v[70:71], v[70:71], v[78:79]
	v_mul_f64 v[78:79], v[46:47], s[16:17]
	v_fma_f64 v[80:81], v[44:45], s[2:3], v[76:77]
	v_fma_f64 v[76:77], v[44:45], s[24:25], v[76:77]
	;; [unrolled: 1-line block ×3, first 2 shown]
	v_fma_f64 v[78:79], v[60:61], s[14:15], -v[78:79]
	v_add_f64 v[76:77], v[76:77], v[84:85]
	v_mul_f64 v[84:85], v[62:63], s[14:15]
	v_add_f64 v[80:81], v[80:81], v[86:87]
	v_add_f64 v[82:83], v[82:83], v[90:91]
	;; [unrolled: 1-line block ×3, first 2 shown]
	v_mul_f64 v[88:89], v[46:47], s[42:43]
	v_fma_f64 v[86:87], v[44:45], s[28:29], v[84:85]
	v_fma_f64 v[84:85], v[44:45], s[16:17], v[84:85]
	v_mul_f64 v[46:47], v[46:47], s[36:37]
	v_fma_f64 v[90:91], v[60:61], s[30:31], v[88:89]
	v_fma_f64 v[88:89], v[60:61], s[30:31], -v[88:89]
	v_add_f64 v[84:85], v[84:85], v[92:93]
	v_mul_f64 v[92:93], v[62:63], s[30:31]
	v_mul_f64 v[62:63], v[62:63], s[4:5]
	v_add_f64 v[86:87], v[86:87], v[94:95]
	v_add_f64 v[90:91], v[90:91], v[98:99]
	;; [unrolled: 1-line block ×3, first 2 shown]
	v_fma_f64 v[96:97], v[60:61], s[4:5], v[46:47]
	v_fma_f64 v[46:47], v[60:61], s[4:5], -v[46:47]
	v_fma_f64 v[94:95], v[44:45], s[34:35], v[92:93]
	v_fma_f64 v[92:93], v[44:45], s[42:43], v[92:93]
	;; [unrolled: 1-line block ×4, first 2 shown]
	v_add_f64 v[96:97], v[96:97], v[110:111]
	v_add_f64 v[46:47], v[46:47], v[54:55]
	;; [unrolled: 1-line block ×3, first 2 shown]
	v_add_f64 v[38:39], v[38:39], -v[42:43]
	v_add_f64 v[94:95], v[94:95], v[106:107]
	v_add_f64 v[44:45], v[44:45], v[52:53]
	;; [unrolled: 1-line block ×3, first 2 shown]
	v_add_f64 v[36:37], v[36:37], -v[40:41]
	v_add_f64 v[106:107], v[26:27], -v[30:31]
	v_add_f64 v[98:99], v[98:99], v[112:113]
	v_mul_f64 v[62:63], v[54:55], s[14:15]
	v_mul_f64 v[40:41], v[38:39], s[26:27]
	v_add_f64 v[92:93], v[92:93], v[101:102]
	v_add_f64 v[101:102], v[24:25], -v[28:29]
	v_fma_f64 v[42:43], v[52:53], s[22:23], v[40:41]
	v_fma_f64 v[40:41], v[52:53], s[22:23], -v[40:41]
	v_add_f64 v[42:43], v[42:43], v[50:51]
	v_mul_f64 v[50:51], v[54:55], s[22:23]
	v_add_f64 v[40:41], v[40:41], v[48:49]
	v_fma_f64 v[60:61], v[36:37], s[40:41], v[50:51]
	v_fma_f64 v[48:49], v[36:37], s[26:27], v[50:51]
	v_mul_f64 v[50:51], v[38:39], s[28:29]
	v_add_f64 v[60:61], v[60:61], v[68:69]
	v_add_f64 v[48:49], v[48:49], v[56:57]
	v_fma_f64 v[56:57], v[52:53], s[14:15], v[50:51]
	v_fma_f64 v[50:51], v[52:53], s[14:15], -v[50:51]
	v_mul_f64 v[68:69], v[54:55], s[4:5]
	v_add_f64 v[56:57], v[56:57], v[64:65]
	v_fma_f64 v[64:65], v[36:37], s[16:17], v[62:63]
	v_add_f64 v[50:51], v[50:51], v[58:59]
	v_fma_f64 v[58:59], v[36:37], s[28:29], v[62:63]
	v_mul_f64 v[62:63], v[38:39], s[12:13]
	v_add_f64 v[64:65], v[64:65], v[72:73]
	v_fma_f64 v[72:73], v[36:37], s[36:37], v[68:69]
	v_add_f64 v[58:59], v[58:59], v[66:67]
	v_fma_f64 v[66:67], v[52:53], s[4:5], v[62:63]
	v_fma_f64 v[62:63], v[52:53], s[4:5], -v[62:63]
	v_fma_f64 v[68:69], v[36:37], s[12:13], v[68:69]
	v_add_f64 v[72:73], v[72:73], v[80:81]
	v_add_f64 v[66:67], v[66:67], v[74:75]
	;; [unrolled: 1-line block ×3, first 2 shown]
	v_mul_f64 v[70:71], v[38:39], s[42:43]
	v_add_f64 v[68:69], v[68:69], v[76:77]
	v_mul_f64 v[76:77], v[54:55], s[30:31]
	v_fma_f64 v[74:75], v[52:53], s[30:31], v[70:71]
	v_fma_f64 v[70:71], v[52:53], s[30:31], -v[70:71]
	v_fma_f64 v[80:81], v[36:37], s[34:35], v[76:77]
	v_fma_f64 v[76:77], v[36:37], s[42:43], v[76:77]
	v_add_f64 v[74:75], v[74:75], v[82:83]
	v_add_f64 v[70:71], v[70:71], v[78:79]
	v_mul_f64 v[78:79], v[38:39], s[24:25]
	v_mul_f64 v[38:39], v[38:39], s[20:21]
	v_add_f64 v[76:77], v[76:77], v[84:85]
	v_mul_f64 v[84:85], v[54:55], s[0:1]
	v_mul_f64 v[54:55], v[54:55], s[18:19]
	v_add_f64 v[80:81], v[80:81], v[86:87]
	v_fma_f64 v[82:83], v[52:53], s[0:1], v[78:79]
	v_fma_f64 v[78:79], v[52:53], s[0:1], -v[78:79]
	v_fma_f64 v[86:87], v[36:37], s[2:3], v[84:85]
	v_fma_f64 v[84:85], v[36:37], s[24:25], v[84:85]
	v_add_f64 v[82:83], v[82:83], v[90:91]
	v_add_f64 v[78:79], v[78:79], v[88:89]
	v_fma_f64 v[88:89], v[52:53], s[18:19], v[38:39]
	v_fma_f64 v[90:91], v[36:37], s[38:39], v[54:55]
	;; [unrolled: 1-line block ×3, first 2 shown]
	v_add_f64 v[86:87], v[86:87], v[94:95]
	v_fma_f64 v[38:39], v[52:53], s[18:19], -v[38:39]
	v_add_f64 v[84:85], v[84:85], v[92:93]
	v_add_f64 v[88:89], v[88:89], v[96:97]
	;; [unrolled: 1-line block ×3, first 2 shown]
	v_mul_f64 v[28:29], v[106:107], s[34:35]
	v_add_f64 v[90:91], v[90:91], v[98:99]
	v_add_f64 v[98:99], v[26:27], v[30:31]
	;; [unrolled: 1-line block ×4, first 2 shown]
	v_fma_f64 v[24:25], v[96:97], s[30:31], v[28:29]
	v_fma_f64 v[28:29], v[96:97], s[30:31], -v[28:29]
	v_mul_f64 v[30:31], v[98:99], s[30:31]
	v_add_f64 v[24:25], v[24:25], v[42:43]
	v_add_f64 v[28:29], v[28:29], v[40:41]
	v_mul_f64 v[40:41], v[106:107], s[24:25]
	v_fma_f64 v[26:27], v[101:102], s[42:43], v[30:31]
	v_fma_f64 v[30:31], v[101:102], s[34:35], v[30:31]
	v_mul_f64 v[42:43], v[98:99], s[0:1]
	v_fma_f64 v[36:37], v[96:97], s[0:1], v[40:41]
	v_fma_f64 v[40:41], v[96:97], s[0:1], -v[40:41]
	v_add_f64 v[30:31], v[30:31], v[48:49]
	v_mul_f64 v[48:49], v[106:107], s[26:27]
	v_fma_f64 v[38:39], v[101:102], s[2:3], v[42:43]
	v_fma_f64 v[42:43], v[101:102], s[24:25], v[42:43]
	v_add_f64 v[26:27], v[26:27], v[60:61]
	v_add_f64 v[36:37], v[36:37], v[56:57]
	v_add_f64 v[40:41], v[40:41], v[50:51]
	v_mul_f64 v[50:51], v[98:99], s[22:23]
	v_mul_f64 v[56:57], v[106:107], s[36:37]
	v_fma_f64 v[44:45], v[96:97], s[22:23], v[48:49]
	v_add_f64 v[42:43], v[42:43], v[58:59]
	v_mul_f64 v[58:59], v[98:99], s[4:5]
	v_add_f64 v[38:39], v[38:39], v[64:65]
	v_fma_f64 v[48:49], v[96:97], s[22:23], -v[48:49]
	v_mul_f64 v[64:65], v[106:107], s[20:21]
	v_fma_f64 v[46:47], v[101:102], s[40:41], v[50:51]
	v_fma_f64 v[52:53], v[96:97], s[4:5], v[56:57]
	v_add_f64 v[44:45], v[44:45], v[66:67]
	v_mul_f64 v[66:67], v[98:99], s[18:19]
	v_fma_f64 v[50:51], v[101:102], s[26:27], v[50:51]
	v_fma_f64 v[56:57], v[96:97], s[4:5], -v[56:57]
	v_fma_f64 v[54:55], v[101:102], s[12:13], v[58:59]
	v_add_f64 v[48:49], v[48:49], v[62:63]
	v_add_f64 v[46:47], v[46:47], v[72:73]
	;; [unrolled: 1-line block ×3, first 2 shown]
	v_mul_f64 v[72:73], v[106:107], s[28:29]
	v_mul_f64 v[74:75], v[98:99], s[14:15]
	v_fma_f64 v[60:61], v[96:97], s[18:19], v[64:65]
	v_fma_f64 v[62:63], v[101:102], s[38:39], v[66:67]
	v_add_f64 v[50:51], v[50:51], v[68:69]
	v_add_f64 v[56:57], v[56:57], v[70:71]
	v_fma_f64 v[58:59], v[101:102], s[36:37], v[58:59]
	v_fma_f64 v[64:65], v[96:97], s[18:19], -v[64:65]
	v_fma_f64 v[68:69], v[96:97], s[14:15], v[72:73]
	v_fma_f64 v[70:71], v[101:102], s[16:17], v[74:75]
	v_fma_f64 v[72:73], v[96:97], s[14:15], -v[72:73]
	v_fma_f64 v[74:75], v[101:102], s[28:29], v[74:75]
	v_fma_f64 v[66:67], v[101:102], s[20:21], v[66:67]
	v_add_f64 v[54:55], v[54:55], v[80:81]
	v_add_f64 v[60:61], v[60:61], v[82:83]
	;; [unrolled: 1-line block ×10, first 2 shown]
	ds_write_b128 v100, v[32:35]
	ds_write_b128 v100, v[24:27] offset:16
	ds_write_b128 v100, v[36:39] offset:32
	;; [unrolled: 1-line block ×12, first 2 shown]
	s_and_saveexec_b64 s[44:45], vcc
	s_cbranch_execz .LBB0_13
; %bb.12:
	buffer_store_dword v212, off, s[52:55], 0 offset:600 ; 4-byte Folded Spill
	s_nop 0
	buffer_store_dword v213, off, s[52:55], 0 offset:604 ; 4-byte Folded Spill
	buffer_store_dword v214, off, s[52:55], 0 offset:608 ; 4-byte Folded Spill
	buffer_store_dword v215, off, s[52:55], 0 offset:612 ; 4-byte Folded Spill
	buffer_store_dword v216, off, s[52:55], 0 offset:616 ; 4-byte Folded Spill
	s_nop 0
	buffer_store_dword v217, off, s[52:55], 0 offset:620 ; 4-byte Folded Spill
	buffer_store_dword v218, off, s[52:55], 0 offset:624 ; 4-byte Folded Spill
	buffer_store_dword v219, off, s[52:55], 0 offset:628 ; 4-byte Folded Spill
	;; [unrolled: 5-line block ×7, first 2 shown]
	buffer_load_dword v170, off, s[52:55], 0 offset:4 ; 4-byte Folded Reload
	s_nop 0
	buffer_load_dword v171, off, s[52:55], 0 offset:8 ; 4-byte Folded Reload
	buffer_load_dword v172, off, s[52:55], 0 offset:12 ; 4-byte Folded Reload
	;; [unrolled: 1-line block ×3, first 2 shown]
	s_nop 0
	buffer_store_dword v224, off, s[52:55], 0 offset:712 ; 4-byte Folded Spill
	s_nop 0
	buffer_store_dword v225, off, s[52:55], 0 offset:716 ; 4-byte Folded Spill
	buffer_store_dword v226, off, s[52:55], 0 offset:720 ; 4-byte Folded Spill
	;; [unrolled: 1-line block ×3, first 2 shown]
	v_mov_b32_e32 v218, v228
	v_mov_b32_e32 v213, v187
	;; [unrolled: 1-line block ×13, first 2 shown]
	buffer_load_dword v186, off, s[52:55], 0 offset:68 ; 4-byte Folded Reload
	buffer_load_dword v187, off, s[52:55], 0 offset:72 ; 4-byte Folded Reload
	;; [unrolled: 1-line block ×4, first 2 shown]
	s_nop 0
	buffer_store_dword v152, off, s[52:55], 0 offset:728 ; 4-byte Folded Spill
	s_nop 0
	buffer_store_dword v153, off, s[52:55], 0 offset:732 ; 4-byte Folded Spill
	buffer_store_dword v154, off, s[52:55], 0 offset:736 ; 4-byte Folded Spill
	;; [unrolled: 1-line block ×3, first 2 shown]
	v_mov_b32_e32 v225, v179
	v_mov_b32_e32 v228, v182
	;; [unrolled: 1-line block ×4, first 2 shown]
	buffer_load_dword v182, off, s[52:55], 0 offset:52 ; 4-byte Folded Reload
	buffer_load_dword v183, off, s[52:55], 0 offset:56 ; 4-byte Folded Reload
	buffer_load_dword v184, off, s[52:55], 0 offset:60 ; 4-byte Folded Reload
	buffer_load_dword v185, off, s[52:55], 0 offset:64 ; 4-byte Folded Reload
	v_mov_b32_e32 v224, v178
	v_mov_b32_e32 v223, v177
	;; [unrolled: 1-line block ×3, first 2 shown]
	buffer_load_dword v174, off, s[52:55], 0 offset:20 ; 4-byte Folded Reload
	buffer_load_dword v175, off, s[52:55], 0 offset:24 ; 4-byte Folded Reload
	;; [unrolled: 1-line block ×8, first 2 shown]
	v_add_f64 v[48:49], v[16:17], -v[20:21]
	v_add_f64 v[36:37], v[18:19], v[22:23]
	v_add_f64 v[54:55], v[18:19], -v[22:23]
	v_mov_b32_e32 v246, v134
	v_mov_b32_e32 v247, v135
	v_mul_f64 v[92:93], v[48:49], s[28:29]
	s_waitcnt vmcnt(26)
	v_add_f64 v[84:85], v[242:243], -v[170:171]
	s_waitcnt vmcnt(24)
	v_add_f64 v[46:47], v[244:245], v[172:173]
	v_add_f64 v[68:69], v[244:245], -v[172:173]
	v_add_f64 v[64:65], v[242:243], v[170:171]
	v_mul_f64 v[24:25], v[84:85], s[34:35]
	v_mul_f64 v[32:33], v[68:69], s[34:35]
	s_waitcnt vmcnt(18)
	v_add_f64 v[52:53], v[12:13], -v[186:187]
	v_fma_f64 v[28:29], v[46:47], s[30:31], v[24:25]
	v_fma_f64 v[24:25], v[46:47], s[30:31], -v[24:25]
	v_fma_f64 v[78:79], v[64:65], s[30:31], -v[32:33]
	s_waitcnt vmcnt(16)
	v_add_f64 v[38:39], v[14:15], v[188:189]
	v_add_f64 v[70:71], v[14:15], -v[188:189]
	s_waitcnt vmcnt(10)
	v_add_f64 v[56:57], v[8:9], -v[182:183]
	s_waitcnt vmcnt(8)
	v_add_f64 v[40:41], v[10:11], v[184:185]
	v_add_f64 v[76:77], v[10:11], -v[184:185]
	v_add_f64 v[28:29], v[250:251], v[28:29]
	s_waitcnt vmcnt(6)
	v_add_f64 v[106:107], v[0:1], -v[174:175]
	s_waitcnt vmcnt(2)
	v_add_f64 v[60:61], v[4:5], -v[178:179]
	v_add_f64 v[44:45], v[2:3], v[176:177]
	v_add_f64 v[66:67], v[2:3], -v[176:177]
	s_waitcnt vmcnt(0)
	v_add_f64 v[42:43], v[6:7], v[180:181]
	v_add_f64 v[72:73], v[6:7], -v[180:181]
	v_add_f64 v[62:63], v[0:1], v[174:175]
	v_mul_f64 v[80:81], v[56:57], s[36:37]
	v_mul_f64 v[26:27], v[106:107], s[24:25]
	;; [unrolled: 1-line block ×3, first 2 shown]
	v_add_f64 v[58:59], v[4:5], v[178:179]
	v_mul_f64 v[82:83], v[66:67], s[24:25]
	v_add_f64 v[78:79], v[248:249], v[78:79]
	v_mul_f64 v[86:87], v[72:73], s[26:27]
	v_add_f64 v[24:25], v[250:251], v[24:25]
	v_add_f64 v[50:51], v[8:9], v[182:183]
	v_fma_f64 v[34:35], v[44:45], s[0:1], v[26:27]
	v_fma_f64 v[74:75], v[42:43], s[22:23], v[30:31]
	v_fma_f64 v[26:27], v[44:45], s[0:1], -v[26:27]
	v_fma_f64 v[90:91], v[62:63], s[0:1], -v[82:83]
	v_fma_f64 v[88:89], v[40:41], s[4:5], v[80:81]
	v_mul_f64 v[94:95], v[76:77], s[36:37]
	v_fma_f64 v[98:99], v[58:59], s[22:23], -v[86:87]
	v_fma_f64 v[30:31], v[42:43], s[22:23], -v[30:31]
	v_add_f64 v[28:29], v[34:35], v[28:29]
	v_mul_f64 v[34:35], v[52:53], s[20:21]
	v_fma_f64 v[32:33], v[64:65], s[30:31], v[32:33]
	v_add_f64 v[78:79], v[90:91], v[78:79]
	v_add_f64 v[24:25], v[26:27], v[24:25]
	v_fma_f64 v[26:27], v[50:51], s[4:5], -v[94:95]
	v_fma_f64 v[80:81], v[40:41], s[4:5], -v[80:81]
	v_fma_f64 v[82:83], v[62:63], s[0:1], v[82:83]
	v_add_f64 v[28:29], v[74:75], v[28:29]
	v_fma_f64 v[96:97], v[38:39], s[18:19], v[34:35]
	v_add_f64 v[74:75], v[12:13], v[186:187]
	v_add_f64 v[90:91], v[98:99], v[78:79]
	;; [unrolled: 1-line block ×5, first 2 shown]
	v_mul_f64 v[98:99], v[54:55], s[28:29]
	v_add_f64 v[28:29], v[88:89], v[28:29]
	v_mul_f64 v[88:89], v[70:71], s[20:21]
	v_fma_f64 v[34:35], v[38:39], s[18:19], -v[34:35]
	v_add_f64 v[26:27], v[26:27], v[90:91]
	v_fma_f64 v[90:91], v[36:37], s[14:15], v[92:93]
	v_fma_f64 v[86:87], v[58:59], s[22:23], v[86:87]
	v_add_f64 v[32:33], v[82:83], v[32:33]
	v_add_f64 v[24:25], v[80:81], v[24:25]
	;; [unrolled: 1-line block ×3, first 2 shown]
	v_fma_f64 v[30:31], v[74:75], s[18:19], -v[88:89]
	v_fma_f64 v[80:81], v[78:79], s[14:15], -v[98:99]
	;; [unrolled: 1-line block ×3, first 2 shown]
	v_fma_f64 v[92:93], v[50:51], s[4:5], v[94:95]
	v_mul_f64 v[94:95], v[84:85], s[26:27]
	v_add_f64 v[32:33], v[86:87], v[32:33]
	v_add_f64 v[34:35], v[34:35], v[24:25]
	;; [unrolled: 1-line block ×4, first 2 shown]
	v_mul_f64 v[28:29], v[68:69], s[26:27]
	v_mul_f64 v[86:87], v[106:107], s[28:29]
	v_fma_f64 v[90:91], v[78:79], s[14:15], v[98:99]
	v_mul_f64 v[100:101], v[56:57], s[42:43]
	v_add_f64 v[32:33], v[92:93], v[32:33]
	v_mul_f64 v[92:93], v[60:61], s[12:13]
	v_mul_f64 v[112:113], v[76:77], s[42:43]
	v_add_f64 v[192:193], v[80:81], v[30:31]
	v_fma_f64 v[80:81], v[74:75], s[18:19], v[88:89]
	v_fma_f64 v[88:89], v[46:47], s[22:23], v[94:95]
	v_add_f64 v[30:31], v[82:83], v[34:35]
	v_mul_f64 v[34:35], v[66:67], s[28:29]
	v_fma_f64 v[82:83], v[64:65], s[22:23], -v[28:29]
	v_fma_f64 v[96:97], v[44:45], s[14:15], v[86:87]
	v_fma_f64 v[110:111], v[42:43], s[4:5], v[92:93]
	v_fma_f64 v[94:95], v[46:47], s[22:23], -v[94:95]
	v_add_f64 v[32:33], v[80:81], v[32:33]
	v_add_f64 v[88:89], v[250:251], v[88:89]
	v_mul_f64 v[80:81], v[72:73], s[12:13]
	v_fma_f64 v[98:99], v[62:63], s[14:15], -v[34:35]
	v_add_f64 v[82:83], v[248:249], v[82:83]
	v_fma_f64 v[86:87], v[44:45], s[14:15], -v[86:87]
	v_mul_f64 v[116:117], v[70:71], s[24:25]
	v_add_f64 v[94:95], v[250:251], v[94:95]
	v_fma_f64 v[118:119], v[50:51], s[30:31], -v[112:113]
	v_add_f64 v[88:89], v[96:97], v[88:89]
	v_fma_f64 v[114:115], v[58:59], s[4:5], -v[80:81]
	v_mul_f64 v[96:97], v[52:53], s[24:25]
	v_add_f64 v[82:83], v[98:99], v[82:83]
	v_fma_f64 v[98:99], v[40:41], s[30:31], v[100:101]
	v_fma_f64 v[92:93], v[42:43], s[4:5], -v[92:93]
	v_add_f64 v[86:87], v[86:87], v[94:95]
	v_mul_f64 v[94:95], v[54:55], s[20:21]
	v_add_f64 v[88:89], v[110:111], v[88:89]
	v_mul_f64 v[110:111], v[48:49], s[20:21]
	v_fma_f64 v[28:29], v[64:65], s[22:23], v[28:29]
	v_add_f64 v[82:83], v[114:115], v[82:83]
	v_fma_f64 v[114:115], v[38:39], s[0:1], v[96:97]
	v_fma_f64 v[100:101], v[40:41], s[30:31], -v[100:101]
	v_add_f64 v[86:87], v[92:93], v[86:87]
	v_fma_f64 v[92:93], v[78:79], s[18:19], -v[94:95]
	v_add_f64 v[88:89], v[98:99], v[88:89]
	;; [unrolled: 2-line block ×3, first 2 shown]
	v_add_f64 v[82:83], v[118:119], v[82:83]
	v_fma_f64 v[118:119], v[36:37], s[18:19], v[110:111]
	v_add_f64 v[28:29], v[90:91], v[32:33]
	v_fma_f64 v[90:91], v[38:39], s[0:1], -v[96:97]
	v_add_f64 v[86:87], v[100:101], v[86:87]
	v_add_f64 v[88:89], v[114:115], v[88:89]
	v_fma_f64 v[114:115], v[62:63], s[14:15], v[34:35]
	v_fma_f64 v[80:81], v[58:59], s[4:5], v[80:81]
	v_add_f64 v[82:83], v[98:99], v[82:83]
	v_mul_f64 v[98:99], v[106:107], s[40:41]
	v_mul_f64 v[124:125], v[76:77], s[16:17]
	v_mov_b32_e32 v24, v238
	v_add_f64 v[86:87], v[90:91], v[86:87]
	v_add_f64 v[34:35], v[118:119], v[88:89]
	v_mul_f64 v[88:89], v[84:85], s[20:21]
	v_add_f64 v[96:97], v[114:115], v[120:121]
	v_add_f64 v[32:33], v[92:93], v[82:83]
	v_mul_f64 v[92:93], v[68:69], s[20:21]
	v_fma_f64 v[82:83], v[36:37], s[18:19], -v[110:111]
	v_fma_f64 v[90:91], v[50:51], s[30:31], v[112:113]
	v_fma_f64 v[112:113], v[74:75], s[0:1], v[116:117]
	v_mul_f64 v[114:115], v[60:61], s[24:25]
	v_fma_f64 v[100:101], v[46:47], s[18:19], v[88:89]
	v_add_f64 v[80:81], v[80:81], v[96:97]
	v_mul_f64 v[96:97], v[66:67], s[40:41]
	v_fma_f64 v[110:111], v[64:65], s[18:19], -v[92:93]
	v_fma_f64 v[116:117], v[44:45], s[22:23], v[98:99]
	v_fma_f64 v[88:89], v[46:47], s[18:19], -v[88:89]
	v_mul_f64 v[120:121], v[56:57], s[16:17]
	v_fma_f64 v[122:123], v[42:43], s[0:1], v[114:115]
	v_add_f64 v[100:101], v[250:251], v[100:101]
	v_add_f64 v[80:81], v[90:91], v[80:81]
	v_mul_f64 v[90:91], v[72:73], s[24:25]
	v_fma_f64 v[118:119], v[62:63], s[22:23], -v[96:97]
	v_add_f64 v[110:111], v[248:249], v[110:111]
	v_fma_f64 v[98:99], v[44:45], s[22:23], -v[98:99]
	v_add_f64 v[88:89], v[250:251], v[88:89]
	v_mov_b32_e32 v25, v239
	v_add_f64 v[100:101], v[116:117], v[100:101]
	v_mov_b32_e32 v26, v240
	v_fma_f64 v[126:127], v[58:59], s[0:1], -v[90:91]
	v_mov_b32_e32 v27, v241
	v_add_f64 v[110:111], v[118:119], v[110:111]
	v_mov_b32_e32 v241, v133
	v_mul_f64 v[116:117], v[52:53], s[42:43]
	v_fma_f64 v[118:119], v[40:41], s[14:15], v[120:121]
	v_add_f64 v[100:101], v[122:123], v[100:101]
	v_mul_f64 v[128:129], v[70:71], s[42:43]
	v_mov_b32_e32 v240, v132
	v_mov_b32_e32 v239, v131
	;; [unrolled: 1-line block ×3, first 2 shown]
	v_fma_f64 v[130:131], v[50:51], s[14:15], -v[124:125]
	v_add_f64 v[110:111], v[126:127], v[110:111]
	v_fma_f64 v[114:115], v[42:43], s[0:1], -v[114:115]
	v_add_f64 v[88:89], v[98:99], v[88:89]
	v_fma_f64 v[98:99], v[38:39], s[30:31], v[116:117]
	v_add_f64 v[100:101], v[118:119], v[100:101]
	v_add_f64 v[80:81], v[112:113], v[80:81]
	v_mul_f64 v[112:113], v[54:55], s[36:37]
	v_fma_f64 v[118:119], v[74:75], s[30:31], -v[128:129]
	v_add_f64 v[110:111], v[130:131], v[110:111]
	v_fma_f64 v[120:121], v[40:41], s[14:15], -v[120:121]
	v_add_f64 v[88:89], v[114:115], v[88:89]
	v_fma_f64 v[94:95], v[78:79], s[18:19], v[94:95]
	v_mul_f64 v[122:123], v[48:49], s[36:37]
	v_add_f64 v[98:99], v[98:99], v[100:101]
	v_add_f64 v[82:83], v[82:83], v[86:87]
	v_fma_f64 v[86:87], v[78:79], s[4:5], -v[112:113]
	v_fma_f64 v[92:93], v[64:65], s[18:19], v[92:93]
	v_add_f64 v[100:101], v[118:119], v[110:111]
	v_fma_f64 v[110:111], v[38:39], s[30:31], -v[116:117]
	v_add_f64 v[116:117], v[120:121], v[88:89]
	v_fma_f64 v[114:115], v[36:37], s[4:5], v[122:123]
	v_add_f64 v[80:81], v[94:95], v[80:81]
	v_fma_f64 v[94:95], v[62:63], s[22:23], v[96:97]
	v_mul_f64 v[96:97], v[84:85], s[16:17]
	v_add_f64 v[92:93], v[248:249], v[92:93]
	v_add_f64 v[86:87], v[86:87], v[100:101]
	v_fma_f64 v[90:91], v[58:59], s[0:1], v[90:91]
	v_add_f64 v[100:101], v[110:111], v[116:117]
	v_mul_f64 v[110:111], v[68:69], s[16:17]
	v_add_f64 v[88:89], v[114:115], v[98:99]
	v_fma_f64 v[98:99], v[36:37], s[4:5], -v[122:123]
	v_mul_f64 v[114:115], v[106:107], s[34:35]
	v_fma_f64 v[116:117], v[46:47], s[14:15], v[96:97]
	v_add_f64 v[92:93], v[94:95], v[92:93]
	v_mul_f64 v[120:121], v[66:67], s[34:35]
	v_fma_f64 v[94:95], v[78:79], s[4:5], v[112:113]
	v_fma_f64 v[122:123], v[64:65], s[14:15], -v[110:111]
	v_fma_f64 v[112:113], v[50:51], s[14:15], v[124:125]
	v_mul_f64 v[118:119], v[60:61], s[38:39]
	v_fma_f64 v[124:125], v[44:45], s[30:31], v[114:115]
	v_add_f64 v[116:117], v[250:251], v[116:117]
	v_add_f64 v[90:91], v[90:91], v[92:93]
	v_fma_f64 v[92:93], v[74:75], s[30:31], v[128:129]
	v_mul_f64 v[128:129], v[72:73], s[38:39]
	v_fma_f64 v[130:131], v[62:63], s[30:31], -v[120:121]
	v_add_f64 v[122:123], v[248:249], v[122:123]
	v_mul_f64 v[126:127], v[56:57], s[24:25]
	v_fma_f64 v[102:103], v[42:43], s[18:19], v[118:119]
	v_add_f64 v[116:117], v[124:125], v[116:117]
	v_mul_f64 v[124:125], v[76:77], s[24:25]
	v_fma_f64 v[96:97], v[46:47], s[14:15], -v[96:97]
	v_fma_f64 v[132:133], v[58:59], s[18:19], -v[128:129]
	v_add_f64 v[90:91], v[112:113], v[90:91]
	v_add_f64 v[122:123], v[130:131], v[122:123]
	v_mul_f64 v[112:113], v[52:53], s[12:13]
	v_fma_f64 v[130:131], v[40:41], s[0:1], v[126:127]
	v_add_f64 v[102:103], v[102:103], v[116:117]
	v_mul_f64 v[134:135], v[70:71], s[12:13]
	v_fma_f64 v[136:137], v[50:51], s[0:1], -v[124:125]
	v_fma_f64 v[114:115], v[44:45], s[30:31], -v[114:115]
	v_add_f64 v[96:97], v[250:251], v[96:97]
	;; [unrolled: 8-line block ×3, first 2 shown]
	v_add_f64 v[114:115], v[136:137], v[122:123]
	v_add_f64 v[90:91], v[92:93], v[90:91]
	v_fma_f64 v[122:123], v[36:37], s[22:23], v[116:117]
	v_add_f64 v[102:103], v[132:133], v[102:103]
	v_add_f64 v[92:93], v[98:99], v[100:101]
	v_fma_f64 v[98:99], v[78:79], s[22:23], -v[130:131]
	v_fma_f64 v[100:101], v[40:41], s[0:1], -v[126:127]
	v_fma_f64 v[110:111], v[64:65], s[14:15], v[110:111]
	v_add_f64 v[118:119], v[118:119], v[96:97]
	v_add_f64 v[114:115], v[138:139], v[114:115]
	;; [unrolled: 1-line block ×4, first 2 shown]
	v_fma_f64 v[102:103], v[38:39], s[4:5], -v[112:113]
	v_mul_f64 v[112:113], v[84:85], s[12:13]
	v_fma_f64 v[120:121], v[62:63], s[30:31], v[120:121]
	v_add_f64 v[110:111], v[248:249], v[110:111]
	v_add_f64 v[100:101], v[100:101], v[118:119]
	;; [unrolled: 1-line block ×3, first 2 shown]
	v_mul_f64 v[114:115], v[68:69], s[12:13]
	v_fma_f64 v[98:99], v[36:37], s[22:23], -v[116:117]
	v_mul_f64 v[116:117], v[106:107], s[20:21]
	v_fma_f64 v[118:119], v[46:47], s[4:5], v[112:113]
	v_fma_f64 v[122:123], v[58:59], s[18:19], v[128:129]
	v_add_f64 v[110:111], v[120:121], v[110:111]
	v_add_f64 v[100:101], v[102:103], v[100:101]
	v_mul_f64 v[102:103], v[66:67], s[20:21]
	v_fma_f64 v[120:121], v[64:65], s[4:5], -v[114:115]
	v_mul_f64 v[126:127], v[60:61], s[34:35]
	v_fma_f64 v[128:129], v[44:45], s[18:19], v[116:117]
	v_add_f64 v[118:119], v[250:251], v[118:119]
	v_fma_f64 v[124:125], v[50:51], s[0:1], v[124:125]
	v_add_f64 v[110:111], v[122:123], v[110:111]
	v_mul_f64 v[122:123], v[72:73], s[34:35]
	v_fma_f64 v[132:133], v[62:63], s[18:19], -v[102:103]
	v_add_f64 v[120:121], v[248:249], v[120:121]
	v_mul_f64 v[136:137], v[56:57], s[40:41]
	v_fma_f64 v[138:139], v[42:43], s[30:31], v[126:127]
	v_add_f64 v[118:119], v[128:129], v[118:119]
	v_fma_f64 v[128:129], v[74:75], s[4:5], v[134:135]
	v_add_f64 v[110:111], v[124:125], v[110:111]
	v_mul_f64 v[124:125], v[76:77], s[40:41]
	v_fma_f64 v[134:135], v[58:59], s[30:31], -v[122:123]
	v_add_f64 v[120:121], v[132:133], v[120:121]
	v_mul_f64 v[132:133], v[52:53], s[28:29]
	v_fma_f64 v[152:153], v[40:41], s[22:23], v[136:137]
	v_add_f64 v[118:119], v[138:139], v[118:119]
	v_fma_f64 v[112:113], v[46:47], s[4:5], -v[112:113]
	v_fma_f64 v[116:117], v[44:45], s[18:19], -v[116:117]
	;; [unrolled: 1-line block ×3, first 2 shown]
	v_fma_f64 v[114:115], v[64:65], s[4:5], v[114:115]
	v_add_f64 v[120:121], v[134:135], v[120:121]
	v_fma_f64 v[154:155], v[38:39], s[14:15], v[132:133]
	v_mul_f64 v[84:85], v[84:85], s[2:3]
	v_add_f64 v[118:119], v[152:153], v[118:119]
	v_add_f64 v[112:113], v[250:251], v[112:113]
	v_fma_f64 v[126:127], v[42:43], s[30:31], -v[126:127]
	v_fma_f64 v[102:103], v[62:63], s[18:19], v[102:103]
	v_add_f64 v[114:115], v[248:249], v[114:115]
	v_add_f64 v[120:121], v[138:139], v[120:121]
	;; [unrolled: 1-line block ×3, first 2 shown]
	v_mul_f64 v[106:107], v[106:107], s[12:13]
	v_add_f64 v[118:119], v[154:155], v[118:119]
	v_add_f64 v[154:155], v[248:249], v[242:243]
	;; [unrolled: 1-line block ×3, first 2 shown]
	v_fma_f64 v[116:117], v[40:41], s[22:23], -v[136:137]
	v_fma_f64 v[136:137], v[46:47], s[0:1], v[84:85]
	v_fma_f64 v[46:47], v[46:47], s[0:1], -v[84:85]
	v_add_f64 v[2:3], v[138:139], v[2:3]
	v_mul_f64 v[66:67], v[66:67], s[12:13]
	v_fma_f64 v[130:131], v[78:79], s[22:23], v[130:131]
	v_add_f64 v[0:1], v[154:155], v[0:1]
	v_add_f64 v[112:113], v[126:127], v[112:113]
	;; [unrolled: 1-line block ×3, first 2 shown]
	v_mul_f64 v[134:135], v[48:49], s[24:25]
	v_fma_f64 v[132:133], v[38:39], s[14:15], -v[132:133]
	v_add_f64 v[2:3], v[2:3], v[6:7]
	v_fma_f64 v[122:123], v[58:59], s[30:31], v[122:123]
	v_add_f64 v[102:103], v[102:103], v[114:115]
	v_add_f64 v[0:1], v[0:1], v[4:5]
	v_mul_f64 v[60:61], v[60:61], s[16:17]
	v_fma_f64 v[114:115], v[44:45], s[4:5], v[106:107]
	v_add_f64 v[112:113], v[116:117], v[112:113]
	v_fma_f64 v[44:45], v[44:45], s[4:5], -v[106:107]
	v_add_f64 v[10:11], v[2:3], v[10:11]
	v_add_f64 v[46:47], v[250:251], v[46:47]
	;; [unrolled: 1-line block ×5, first 2 shown]
	v_mul_f64 v[152:153], v[54:55], s[24:25]
	v_add_f64 v[98:99], v[130:131], v[110:111]
	v_fma_f64 v[110:111], v[36:37], s[0:1], v[134:135]
	v_add_f64 v[10:11], v[10:11], v[14:15]
	v_fma_f64 v[134:135], v[36:37], s[0:1], -v[134:135]
	v_add_f64 v[102:103], v[122:123], v[102:103]
	v_add_f64 v[0:1], v[0:1], v[12:13]
	v_mul_f64 v[12:13], v[68:69], s[2:3]
	v_mul_f64 v[56:57], v[56:57], s[20:21]
	v_fma_f64 v[122:123], v[42:43], s[14:15], v[60:61]
	v_add_f64 v[4:5], v[132:133], v[112:113]
	v_add_f64 v[10:11], v[10:11], v[18:19]
	v_mul_f64 v[18:19], v[72:73], s[16:17]
	v_mul_f64 v[14:15], v[54:55], s[34:35]
	v_add_f64 v[0:1], v[0:1], v[16:17]
	v_fma_f64 v[16:17], v[64:65], s[0:1], v[12:13]
	v_fma_f64 v[12:13], v[64:65], s[0:1], -v[12:13]
	v_fma_f64 v[64:65], v[62:63], s[4:5], v[66:67]
	v_mul_f64 v[54:55], v[76:77], s[20:21]
	v_add_f64 v[10:11], v[10:11], v[22:23]
	v_fma_f64 v[22:23], v[42:43], s[14:15], -v[60:61]
	v_add_f64 v[42:43], v[44:45], v[46:47]
	v_add_f64 v[0:1], v[0:1], v[20:21]
	;; [unrolled: 1-line block ×3, first 2 shown]
	v_fma_f64 v[20:21], v[62:63], s[4:5], -v[66:67]
	v_add_f64 v[12:13], v[248:249], v[12:13]
	v_fma_f64 v[44:45], v[58:59], s[14:15], v[18:19]
	v_add_f64 v[10:11], v[10:11], v[188:189]
	v_fma_f64 v[116:117], v[50:51], s[22:23], v[124:125]
	v_mul_f64 v[128:129], v[70:71], s[28:29]
	v_add_f64 v[0:1], v[0:1], v[186:187]
	v_add_f64 v[16:17], v[64:65], v[16:17]
	;; [unrolled: 1-line block ×3, first 2 shown]
	v_mul_f64 v[52:53], v[52:53], s[26:27]
	v_fma_f64 v[112:113], v[40:41], s[18:19], v[56:57]
	v_add_f64 v[10:11], v[10:11], v[184:185]
	v_add_f64 v[2:3], v[134:135], v[4:5]
	v_mul_f64 v[4:5], v[48:49], s[34:35]
	v_add_f64 v[0:1], v[0:1], v[182:183]
	v_mul_f64 v[48:49], v[70:71], s[26:27]
	v_fma_f64 v[18:19], v[58:59], s[14:15], -v[18:19]
	v_add_f64 v[12:13], v[20:21], v[12:13]
	v_fma_f64 v[20:21], v[40:41], s[18:19], -v[56:57]
	v_add_f64 v[10:11], v[10:11], v[180:181]
	v_add_f64 v[22:23], v[22:23], v[42:43]
	v_fma_f64 v[40:41], v[50:51], s[18:19], v[54:55]
	v_add_f64 v[0:1], v[0:1], v[178:179]
	v_add_f64 v[16:17], v[44:45], v[16:17]
	v_mov_b32_e32 v180, v226
	v_mov_b32_e32 v188, v202
	;; [unrolled: 1-line block ×3, first 2 shown]
	v_add_f64 v[10:11], v[10:11], v[176:177]
	v_mov_b32_e32 v181, v227
	v_mov_b32_e32 v182, v228
	;; [unrolled: 1-line block ×5, first 2 shown]
	v_fma_f64 v[130:131], v[78:79], s[0:1], -v[152:153]
	v_add_f64 v[102:103], v[116:117], v[102:103]
	v_fma_f64 v[116:117], v[78:79], s[0:1], v[152:153]
	v_mov_b32_e32 v189, v203
	v_mov_b32_e32 v190, v204
	;; [unrolled: 1-line block ×12, first 2 shown]
	buffer_load_dword v152, off, s[52:55], 0 offset:728 ; 4-byte Folded Reload
	buffer_load_dword v153, off, s[52:55], 0 offset:732 ; 4-byte Folded Reload
	;; [unrolled: 1-line block ×8, first 2 shown]
	v_add_f64 v[0:1], v[0:1], v[174:175]
	v_add_f64 v[10:11], v[10:11], v[172:173]
	buffer_load_dword v172, off, s[52:55], 0 offset:696 ; 4-byte Folded Reload
	buffer_load_dword v173, off, s[52:55], 0 offset:700 ; 4-byte Folded Reload
	;; [unrolled: 1-line block ×24, first 2 shown]
	v_fma_f64 v[6:7], v[74:75], s[14:15], v[128:129]
	v_add_f64 v[114:115], v[122:123], v[114:115]
	v_add_f64 v[12:13], v[18:19], v[12:13]
	v_fma_f64 v[18:19], v[38:39], s[22:23], -v[52:53]
	v_add_f64 v[20:21], v[20:21], v[22:23]
	v_fma_f64 v[22:23], v[74:75], s[22:23], v[48:49]
	v_add_f64 v[16:17], v[40:41], v[16:17]
	v_fma_f64 v[168:169], v[74:75], s[14:15], -v[128:129]
	v_add_f64 v[102:103], v[6:7], v[102:103]
	v_fma_f64 v[6:7], v[38:39], s[22:23], v[52:53]
	;; [unrolled: 4-line block ×3, first 2 shown]
	v_add_f64 v[16:17], v[22:23], v[16:17]
	v_add_f64 v[120:121], v[168:169], v[120:121]
	v_fma_f64 v[22:23], v[36:37], s[30:31], v[4:5]
	v_fma_f64 v[42:43], v[50:51], s[18:19], -v[54:55]
	v_add_f64 v[36:37], v[6:7], v[8:9]
	v_add_f64 v[8:9], v[0:1], v[170:171]
	buffer_load_dword v168, off, s[52:55], 0 offset:632 ; 4-byte Folded Reload
	buffer_load_dword v169, off, s[52:55], 0 offset:636 ; 4-byte Folded Reload
	;; [unrolled: 1-line block ×4, first 2 shown]
	v_fma_f64 v[38:39], v[74:75], s[22:23], -v[48:49]
	v_add_f64 v[4:5], v[20:21], v[16:17]
	buffer_load_dword v20, off, s[52:55], 0 offset:596 ; 4-byte Folded Reload
	v_add_f64 v[6:7], v[40:41], v[18:19]
	v_add_f64 v[12:13], v[42:43], v[12:13]
	v_fma_f64 v[42:43], v[78:79], s[30:31], -v[14:15]
	v_add_f64 v[0:1], v[116:117], v[102:103]
	v_mov_b32_e32 v135, v247
	v_mov_b32_e32 v134, v246
	v_add_f64 v[14:15], v[110:111], v[118:119]
	v_add_f64 v[18:19], v[22:23], v[36:37]
	;; [unrolled: 1-line block ×4, first 2 shown]
	v_mov_b32_e32 v130, v238
	v_mov_b32_e32 v131, v239
	;; [unrolled: 1-line block ×8, first 2 shown]
	v_add_f64 v[16:17], v[42:43], v[38:39]
	s_waitcnt vmcnt(0)
	v_lshlrev_b32_e32 v20, 4, v20
	ds_write_b128 v20, v[8:11]
	ds_write_b128 v20, v[4:7] offset:16
	ds_write_b128 v20, v[0:3] offset:32
	ds_write_b128 v20, v[98:101] offset:48
	ds_write_b128 v20, v[90:93] offset:64
	ds_write_b128 v20, v[80:83] offset:80
	ds_write_b128 v20, v[28:31] offset:96
	ds_write_b128 v20, v[192:195] offset:112
	ds_write_b128 v20, v[32:35] offset:128
	ds_write_b128 v20, v[86:89] offset:144
	ds_write_b128 v20, v[94:97] offset:160
	ds_write_b128 v20, v[12:15] offset:176
	ds_write_b128 v20, v[16:19] offset:192
.LBB0_13:
	s_or_b64 exec, exec, s[44:45]
	s_waitcnt lgkmcnt(0)
	s_barrier
	ds_read_b128 v[4:7], v108 offset:4368
	ds_read_b128 v[0:3], v108 offset:2912
	;; [unrolled: 1-line block ×3, first 2 shown]
	s_mov_b32 s2, 0x37e14327
	s_mov_b32 s0, 0x36b3c0b5
	s_waitcnt lgkmcnt(2)
	v_mul_f64 v[12:13], v[178:179], v[6:7]
	v_mul_f64 v[14:15], v[178:179], v[4:5]
	s_mov_b32 s3, 0x3fe948f6
	s_mov_b32 s1, 0x3fac98ee
	;; [unrolled: 1-line block ×6, first 2 shown]
	v_fma_f64 v[36:37], v[176:177], v[4:5], v[12:13]
	v_fma_f64 v[38:39], v[176:177], v[6:7], -v[14:15]
	ds_read_b128 v[4:7], v108 offset:10192
	s_waitcnt lgkmcnt(1)
	v_mul_f64 v[12:13], v[174:175], v[10:11]
	v_mul_f64 v[14:15], v[174:175], v[8:9]
	s_mov_b32 s20, 0xe976ee23
	s_mov_b32 s14, 0x429ad128
	;; [unrolled: 1-line block ×6, first 2 shown]
	v_fma_f64 v[40:41], v[172:173], v[8:9], v[12:13]
	v_fma_f64 v[42:43], v[172:173], v[10:11], -v[14:15]
	ds_read_b128 v[8:11], v108 offset:13104
	ds_read_b128 v[12:15], v108 offset:11648
	buffer_load_dword v18, off, s[52:55], 0 offset:548 ; 4-byte Folded Reload
	buffer_load_dword v19, off, s[52:55], 0 offset:552 ; 4-byte Folded Reload
	;; [unrolled: 1-line block ×4, first 2 shown]
	s_mov_b32 s19, 0x3fd5d0dc
	s_mov_b32 s18, s16
	;; [unrolled: 1-line block ×6, first 2 shown]
	s_waitcnt vmcnt(0) lgkmcnt(1)
	v_mul_f64 v[16:17], v[20:21], v[10:11]
	v_fma_f64 v[44:45], v[18:19], v[8:9], v[16:17]
	v_mul_f64 v[8:9], v[20:21], v[8:9]
	v_fma_f64 v[46:47], v[18:19], v[10:11], -v[8:9]
	ds_read_b128 v[8:11], v108 offset:17472
	ds_read_b128 v[16:19], v108 offset:18928
	buffer_load_dword v22, off, s[52:55], 0 offset:564 ; 4-byte Folded Reload
	buffer_load_dword v23, off, s[52:55], 0 offset:568 ; 4-byte Folded Reload
	;; [unrolled: 1-line block ×4, first 2 shown]
	s_waitcnt vmcnt(0) lgkmcnt(1)
	v_mul_f64 v[20:21], v[24:25], v[10:11]
	v_fma_f64 v[48:49], v[22:23], v[8:9], v[20:21]
	v_mul_f64 v[8:9], v[24:25], v[8:9]
	v_fma_f64 v[50:51], v[22:23], v[10:11], -v[8:9]
	ds_read_b128 v[8:11], v108 offset:21840
	ds_read_b128 v[28:31], v108 offset:20384
	s_waitcnt lgkmcnt(1)
	v_mul_f64 v[20:21], v[186:187], v[10:11]
	v_add_f64 v[96:97], v[46:47], v[50:51]
	v_add_f64 v[46:47], v[50:51], -v[46:47]
	v_fma_f64 v[52:53], v[184:185], v[8:9], v[20:21]
	v_mul_f64 v[8:9], v[186:187], v[8:9]
	v_fma_f64 v[54:55], v[184:185], v[10:11], -v[8:9]
	ds_read_b128 v[8:11], v108 offset:26208
	ds_read_b128 v[20:23], v108 offset:27664
	buffer_load_dword v32, off, s[52:55], 0 offset:580 ; 4-byte Folded Reload
	buffer_load_dword v33, off, s[52:55], 0 offset:584 ; 4-byte Folded Reload
	;; [unrolled: 1-line block ×4, first 2 shown]
	s_waitcnt vmcnt(0) lgkmcnt(1)
	v_mul_f64 v[24:25], v[34:35], v[10:11]
	v_fma_f64 v[56:57], v[32:33], v[8:9], v[24:25]
	v_mul_f64 v[8:9], v[34:35], v[8:9]
	v_fma_f64 v[58:59], v[32:33], v[10:11], -v[8:9]
	ds_read_b128 v[8:11], v108 offset:5824
	ds_read_b128 v[24:27], v108 offset:7280
	s_waitcnt lgkmcnt(1)
	v_mul_f64 v[32:33], v[218:219], v[10:11]
	v_fma_f64 v[60:61], v[216:217], v[8:9], v[32:33]
	v_mul_f64 v[8:9], v[218:219], v[8:9]
	v_fma_f64 v[62:63], v[216:217], v[10:11], -v[8:9]
	v_mul_f64 v[8:9], v[154:155], v[6:7]
	v_fma_f64 v[64:65], v[152:153], v[4:5], v[8:9]
	v_mul_f64 v[4:5], v[154:155], v[4:5]
	v_fma_f64 v[66:67], v[152:153], v[6:7], -v[4:5]
	ds_read_b128 v[4:7], v108 offset:14560
	ds_read_b128 v[8:11], v108 offset:16016
	s_waitcnt lgkmcnt(1)
	v_mul_f64 v[32:33], v[138:139], v[6:7]
	v_fma_f64 v[68:69], v[136:137], v[4:5], v[32:33]
	v_mul_f64 v[4:5], v[138:139], v[4:5]
	v_fma_f64 v[70:71], v[136:137], v[6:7], -v[4:5]
	;; [unrolled: 11-line block ×3, first 2 shown]
	v_mul_f64 v[4:5], v[182:183], v[22:23]
	v_mul_f64 v[6:7], v[132:133], v[28:29]
	v_fma_f64 v[80:81], v[180:181], v[20:21], v[4:5]
	v_mul_f64 v[4:5], v[182:183], v[20:21]
	buffer_load_dword v18, off, s[52:55], 0 offset:332 ; 4-byte Folded Reload
	buffer_load_dword v19, off, s[52:55], 0 offset:336 ; 4-byte Folded Reload
	;; [unrolled: 1-line block ×4, first 2 shown]
	v_fma_f64 v[82:83], v[180:181], v[22:23], -v[4:5]
	s_waitcnt vmcnt(0)
	v_mul_f64 v[4:5], v[20:21], v[26:27]
	v_fma_f64 v[16:17], v[18:19], v[24:25], v[4:5]
	v_mul_f64 v[4:5], v[20:21], v[24:25]
	buffer_load_dword v22, off, s[52:55], 0 offset:300 ; 4-byte Folded Reload
	buffer_load_dword v23, off, s[52:55], 0 offset:304 ; 4-byte Folded Reload
	;; [unrolled: 1-line block ×4, first 2 shown]
	v_fma_f64 v[18:19], v[18:19], v[26:27], -v[4:5]
	s_waitcnt vmcnt(0)
	v_mul_f64 v[4:5], v[24:25], v[14:15]
	v_fma_f64 v[20:21], v[22:23], v[12:13], v[4:5]
	v_mul_f64 v[4:5], v[24:25], v[12:13]
	v_fma_f64 v[22:23], v[22:23], v[14:15], -v[4:5]
	buffer_load_dword v12, off, s[52:55], 0 offset:356 ; 4-byte Folded Reload
	buffer_load_dword v13, off, s[52:55], 0 offset:360 ; 4-byte Folded Reload
	;; [unrolled: 1-line block ×4, first 2 shown]
	v_mul_f64 v[4:5], v[222:223], v[10:11]
	v_fma_f64 v[24:25], v[220:221], v[8:9], v[4:5]
	v_mul_f64 v[4:5], v[222:223], v[8:9]
	v_fma_f64 v[26:27], v[220:221], v[10:11], -v[4:5]
	v_mul_f64 v[4:5], v[132:133], v[30:31]
	v_fma_f64 v[84:85], v[130:131], v[28:29], v[4:5]
	v_fma_f64 v[28:29], v[130:131], v[30:31], -v[6:7]
	ds_read_b128 v[4:7], v108 offset:29120
	s_waitcnt vmcnt(0) lgkmcnt(1)
	v_mul_f64 v[8:9], v[14:15], v[34:35]
	v_mul_f64 v[10:11], v[14:15], v[32:33]
	v_add_f64 v[14:15], v[40:41], v[52:53]
	v_add_f64 v[40:41], v[40:41], -v[52:53]
	v_fma_f64 v[86:87], v[12:13], v[32:33], v[8:9]
	buffer_load_dword v30, off, s[52:55], 0 offset:316 ; 4-byte Folded Reload
	buffer_load_dword v31, off, s[52:55], 0 offset:320 ; 4-byte Folded Reload
	;; [unrolled: 1-line block ×4, first 2 shown]
	v_fma_f64 v[88:89], v[12:13], v[34:35], -v[10:11]
	v_add_f64 v[12:13], v[36:37], v[56:57]
	v_add_f64 v[34:35], v[42:43], v[54:55]
	v_add_f64 v[36:37], v[36:37], -v[56:57]
	v_add_f64 v[42:43], v[42:43], -v[54:55]
	;; [unrolled: 1-line block ×3, first 2 shown]
	s_waitcnt vmcnt(0) lgkmcnt(0)
	v_mul_f64 v[8:9], v[32:33], v[6:7]
	v_mul_f64 v[10:11], v[32:33], v[4:5]
	v_fma_f64 v[90:91], v[30:31], v[4:5], v[8:9]
	v_add_f64 v[8:9], v[44:45], v[48:49]
	v_add_f64 v[44:45], v[48:49], -v[44:45]
	v_add_f64 v[4:5], v[14:15], v[12:13]
	v_fma_f64 v[92:93], v[30:31], v[6:7], -v[10:11]
	v_add_f64 v[10:11], v[38:39], v[58:59]
	v_add_f64 v[38:39], v[38:39], -v[58:59]
	v_add_f64 v[48:49], v[14:15], -v[12:13]
	;; [unrolled: 1-line block ×3, first 2 shown]
	v_add_f64 v[50:51], v[44:45], v[40:41]
	v_add_f64 v[94:95], v[8:9], v[4:5]
	v_add_f64 v[8:9], v[8:9], -v[14:15]
	v_add_f64 v[52:53], v[44:45], -v[40:41]
	;; [unrolled: 1-line block ×4, first 2 shown]
	v_add_f64 v[4:5], v[34:35], v[10:11]
	v_add_f64 v[14:15], v[34:35], -v[10:11]
	v_add_f64 v[36:37], v[50:51], v[36:37]
	v_add_f64 v[50:51], v[46:47], v[42:43]
	v_add_f64 v[10:11], v[10:11], -v[96:97]
	v_add_f64 v[34:35], v[96:97], -v[34:35]
	;; [unrolled: 1-line block ×4, first 2 shown]
	v_mul_f64 v[12:13], v[12:13], s[2:3]
	v_add_f64 v[98:99], v[96:97], v[4:5]
	ds_read_b128 v[4:7], v108
	ds_read_b128 v[30:33], v108 offset:1456
	v_add_f64 v[38:39], v[50:51], v[38:39]
	v_mul_f64 v[50:51], v[8:9], s[0:1]
	v_mul_f64 v[10:11], v[10:11], s[2:3]
	s_waitcnt lgkmcnt(1)
	v_add_f64 v[4:5], v[4:5], v[94:95]
	v_add_f64 v[96:97], v[70:71], v[74:75]
	v_fma_f64 v[8:9], v[8:9], s[0:1], v[12:13]
	v_fma_f64 v[12:13], v[48:49], s[12:13], -v[12:13]
	v_add_f64 v[6:7], v[6:7], v[98:99]
	v_add_f64 v[70:71], v[74:75], -v[70:71]
	v_fma_f64 v[50:51], v[48:49], s[4:5], -v[50:51]
	v_mul_f64 v[48:49], v[34:35], s[0:1]
	v_fma_f64 v[34:35], v[34:35], s[0:1], v[10:11]
	v_fma_f64 v[10:11], v[14:15], s[12:13], -v[10:11]
	s_waitcnt lgkmcnt(0)
	s_barrier
	v_fma_f64 v[48:49], v[14:15], s[4:5], -v[48:49]
	v_mul_f64 v[14:15], v[52:53], s[20:21]
	v_mul_f64 v[52:53], v[40:41], s[14:15]
	v_fma_f64 v[40:41], v[40:41], s[14:15], -v[14:15]
	v_fma_f64 v[14:15], v[44:45], s[16:17], v[14:15]
	v_fma_f64 v[44:45], v[44:45], s[18:19], -v[52:53]
	v_mul_f64 v[52:53], v[54:55], s[20:21]
	v_mul_f64 v[54:55], v[42:43], s[14:15]
	v_fma_f64 v[40:41], v[36:37], s[22:23], v[40:41]
	v_fma_f64 v[44:45], v[36:37], s[22:23], v[44:45]
	v_fma_f64 v[42:43], v[42:43], s[14:15], -v[52:53]
	v_fma_f64 v[52:53], v[46:47], s[16:17], v[52:53]
	v_fma_f64 v[46:47], v[46:47], s[18:19], -v[54:55]
	v_fma_f64 v[54:55], v[94:95], s[24:25], v[4:5]
	v_fma_f64 v[94:95], v[36:37], s[22:23], v[14:15]
	v_add_f64 v[56:57], v[8:9], v[54:55]
	v_fma_f64 v[8:9], v[98:99], s[24:25], v[6:7]
	v_add_f64 v[50:51], v[50:51], v[54:55]
	v_add_f64 v[54:55], v[12:13], v[54:55]
	v_fma_f64 v[12:13], v[38:39], s[22:23], v[42:43]
	v_fma_f64 v[42:43], v[38:39], s[22:23], v[46:47]
	;; [unrolled: 1-line block ×3, first 2 shown]
	v_add_f64 v[52:53], v[64:65], v[76:77]
	v_add_f64 v[64:65], v[64:65], -v[76:77]
	v_add_f64 v[58:59], v[34:35], v[8:9]
	v_add_f64 v[34:35], v[48:49], v[8:9]
	v_add_f64 v[48:49], v[10:11], v[8:9]
	v_add_f64 v[8:9], v[50:51], -v[12:13]
	v_add_f64 v[38:39], v[54:55], -v[42:43]
	v_add_f64 v[12:13], v[12:13], v[50:51]
	v_add_f64 v[50:51], v[60:61], v[80:81]
	v_add_f64 v[60:61], v[60:61], -v[80:81]
	v_add_f64 v[10:11], v[40:41], v[34:35]
	v_add_f64 v[14:15], v[34:35], -v[40:41]
	v_add_f64 v[34:35], v[42:43], v[54:55]
	v_add_f64 v[54:55], v[68:69], v[72:73]
	v_add_f64 v[68:69], v[72:73], -v[68:69]
	v_add_f64 v[36:37], v[48:49], -v[44:45]
	v_add_f64 v[40:41], v[44:45], v[48:49]
	v_add_f64 v[44:45], v[58:59], -v[94:95]
	v_add_f64 v[48:49], v[94:95], v[58:59]
	v_add_f64 v[94:95], v[66:67], v[78:79]
	v_add_f64 v[66:67], v[66:67], -v[78:79]
	v_add_f64 v[42:43], v[46:47], v[56:57]
	;; [unrolled: 3-line block ×3, first 2 shown]
	v_add_f64 v[58:59], v[62:63], v[82:83]
	v_add_f64 v[62:63], v[62:63], -v[82:83]
	v_add_f64 v[72:73], v[52:53], -v[50:51]
	;; [unrolled: 1-line block ×7, first 2 shown]
	v_add_f64 v[60:61], v[76:77], v[60:61]
	v_add_f64 v[76:77], v[70:71], v[66:67]
	;; [unrolled: 1-line block ×4, first 2 shown]
	v_add_f64 v[54:55], v[94:95], -v[58:59]
	v_add_f64 v[58:59], v[58:59], -v[96:97]
	;; [unrolled: 1-line block ×6, first 2 shown]
	v_add_f64 v[62:63], v[76:77], v[62:63]
	v_mul_f64 v[50:51], v[50:51], s[2:3]
	v_mul_f64 v[76:77], v[52:53], s[0:1]
	;; [unrolled: 1-line block ×3, first 2 shown]
	v_add_f64 v[98:99], v[96:97], v[98:99]
	v_add_f64 v[30:31], v[30:31], v[56:57]
	;; [unrolled: 1-line block ×3, first 2 shown]
	v_add_f64 v[26:27], v[28:29], -v[26:27]
	v_fma_f64 v[52:53], v[52:53], s[0:1], v[50:51]
	v_fma_f64 v[76:77], v[72:73], s[4:5], -v[76:77]
	v_fma_f64 v[50:51], v[72:73], s[12:13], -v[50:51]
	v_mul_f64 v[72:73], v[74:75], s[0:1]
	v_fma_f64 v[74:75], v[74:75], s[0:1], v[58:59]
	v_add_f64 v[32:33], v[32:33], v[98:99]
	v_fma_f64 v[56:57], v[56:57], s[24:25], v[30:31]
	v_fma_f64 v[72:73], v[54:55], s[4:5], -v[72:73]
	v_fma_f64 v[54:55], v[54:55], s[12:13], -v[58:59]
	v_mul_f64 v[58:59], v[78:79], s[20:21]
	v_mul_f64 v[78:79], v[64:65], s[14:15]
	v_add_f64 v[82:83], v[50:51], v[56:57]
	v_fma_f64 v[50:51], v[98:99], s[24:25], v[32:33]
	v_add_f64 v[76:77], v[76:77], v[56:57]
	v_fma_f64 v[64:65], v[64:65], s[14:15], -v[58:59]
	v_fma_f64 v[58:59], v[68:69], s[16:17], v[58:59]
	v_fma_f64 v[68:69], v[68:69], s[18:19], -v[78:79]
	v_mul_f64 v[78:79], v[80:81], s[20:21]
	v_mul_f64 v[80:81], v[66:67], s[14:15]
	v_add_f64 v[74:75], v[74:75], v[50:51]
	v_fma_f64 v[64:65], v[60:61], s[22:23], v[64:65]
	v_fma_f64 v[94:95], v[60:61], s[22:23], v[58:59]
	;; [unrolled: 1-line block ×3, first 2 shown]
	v_fma_f64 v[66:67], v[66:67], s[14:15], -v[78:79]
	v_fma_f64 v[78:79], v[70:71], s[16:17], v[78:79]
	v_fma_f64 v[70:71], v[70:71], s[18:19], -v[80:81]
	v_add_f64 v[80:81], v[52:53], v[56:57]
	v_add_f64 v[56:57], v[72:73], v[50:51]
	;; [unrolled: 1-line block ×3, first 2 shown]
	v_fma_f64 v[54:55], v[62:63], s[22:23], v[66:67]
	v_fma_f64 v[66:67], v[62:63], s[22:23], v[70:71]
	;; [unrolled: 1-line block ×3, first 2 shown]
	v_add_f64 v[52:53], v[64:65], v[56:57]
	v_add_f64 v[56:57], v[56:57], -v[64:65]
	v_add_f64 v[60:61], v[72:73], -v[68:69]
	v_add_f64 v[64:65], v[68:69], v[72:73]
	v_add_f64 v[50:51], v[76:77], -v[54:55]
	v_add_f64 v[54:55], v[54:55], v[76:77]
	v_add_f64 v[58:59], v[66:67], v[82:83]
	v_add_f64 v[62:63], v[82:83], -v[66:67]
	v_add_f64 v[66:67], v[70:71], v[80:81]
	v_add_f64 v[68:69], v[74:75], -v[94:95]
	v_add_f64 v[70:71], v[80:81], -v[70:71]
	v_add_f64 v[72:73], v[94:95], v[74:75]
	ds_write_b128 v134, v[4:7]
	ds_write_b128 v134, v[42:45] offset:208
	ds_write_b128 v134, v[34:37] offset:416
	;; [unrolled: 1-line block ×6, first 2 shown]
	ds_write_b128 v135, v[30:33]
	ds_write_b128 v135, v[66:69] offset:208
	ds_write_b128 v135, v[58:61] offset:416
	;; [unrolled: 1-line block ×6, first 2 shown]
	buffer_load_dword v4, off, s[52:55], 0 offset:348 ; 4-byte Folded Reload
	v_add_f64 v[76:77], v[20:21], v[86:87]
	v_add_f64 v[78:79], v[24:25], v[84:85]
	v_add_f64 v[20:21], v[20:21], -v[86:87]
	v_add_f64 v[24:25], v[84:85], -v[24:25]
	v_add_f64 v[74:75], v[16:17], v[90:91]
	v_add_f64 v[94:95], v[22:23], v[88:89]
	v_add_f64 v[16:17], v[16:17], -v[90:91]
	v_add_f64 v[22:23], v[22:23], -v[88:89]
	v_add_f64 v[82:83], v[18:19], v[92:93]
	v_add_f64 v[18:19], v[18:19], -v[92:93]
	v_add_f64 v[86:87], v[24:25], v[20:21]
	v_add_f64 v[80:81], v[76:77], v[74:75]
	v_add_f64 v[28:29], v[76:77], -v[74:75]
	v_add_f64 v[74:75], v[74:75], -v[78:79]
	;; [unrolled: 1-line block ×6, first 2 shown]
	v_add_f64 v[16:17], v[86:87], v[16:17]
	v_add_f64 v[86:87], v[26:27], v[22:23]
	;; [unrolled: 1-line block ×4, first 2 shown]
	v_add_f64 v[78:79], v[94:95], -v[82:83]
	v_add_f64 v[82:83], v[82:83], -v[96:97]
	;; [unrolled: 1-line block ×6, first 2 shown]
	v_add_f64 v[18:19], v[86:87], v[18:19]
	v_mul_f64 v[74:75], v[74:75], s[2:3]
	v_mul_f64 v[86:87], v[76:77], s[0:1]
	v_add_f64 v[98:99], v[96:97], v[98:99]
	v_add_f64 v[0:1], v[0:1], v[80:81]
	v_fma_f64 v[76:77], v[76:77], s[0:1], v[74:75]
	v_fma_f64 v[86:87], v[28:29], s[4:5], -v[86:87]
	v_fma_f64 v[28:29], v[28:29], s[12:13], -v[74:75]
	v_mul_f64 v[74:75], v[82:83], s[2:3]
	v_mul_f64 v[82:83], v[84:85], s[0:1]
	v_add_f64 v[2:3], v[2:3], v[98:99]
	v_fma_f64 v[80:81], v[80:81], s[24:25], v[0:1]
	v_fma_f64 v[84:85], v[84:85], s[0:1], v[74:75]
	v_fma_f64 v[82:83], v[78:79], s[4:5], -v[82:83]
	v_fma_f64 v[74:75], v[78:79], s[12:13], -v[74:75]
	v_mul_f64 v[78:79], v[88:89], s[20:21]
	v_mul_f64 v[88:89], v[20:21], s[14:15]
	v_add_f64 v[28:29], v[28:29], v[80:81]
	v_fma_f64 v[20:21], v[20:21], s[14:15], -v[78:79]
	v_fma_f64 v[78:79], v[24:25], s[16:17], v[78:79]
	v_fma_f64 v[24:25], v[24:25], s[18:19], -v[88:89]
	v_mul_f64 v[88:89], v[90:91], s[20:21]
	v_mul_f64 v[90:91], v[22:23], s[14:15]
	v_fma_f64 v[94:95], v[16:17], s[22:23], v[78:79]
	v_fma_f64 v[92:93], v[16:17], s[22:23], v[24:25]
	v_fma_f64 v[22:23], v[22:23], s[14:15], -v[88:89]
	v_fma_f64 v[88:89], v[26:27], s[16:17], v[88:89]
	v_fma_f64 v[26:27], v[26:27], s[18:19], -v[90:91]
	v_add_f64 v[90:91], v[76:77], v[80:81]
	v_add_f64 v[76:77], v[86:87], v[80:81]
	v_fma_f64 v[80:81], v[98:99], s[24:25], v[2:3]
	v_fma_f64 v[22:23], v[18:19], s[22:23], v[22:23]
	;; [unrolled: 1-line block ×4, first 2 shown]
	v_add_f64 v[84:85], v[84:85], v[80:81]
	v_add_f64 v[82:83], v[82:83], v[80:81]
	;; [unrolled: 1-line block ×3, first 2 shown]
	v_fma_f64 v[74:75], v[16:17], s[22:23], v[20:21]
	v_add_f64 v[16:17], v[76:77], -v[22:23]
	v_add_f64 v[20:21], v[22:23], v[76:77]
	v_add_f64 v[78:79], v[88:89], v[90:91]
	;; [unrolled: 1-line block ×3, first 2 shown]
	v_add_f64 v[26:27], v[80:81], -v[92:93]
	v_add_f64 v[76:77], v[92:93], v[80:81]
	v_add_f64 v[80:81], v[84:85], -v[94:95]
	v_add_f64 v[18:19], v[74:75], v[82:83]
	v_add_f64 v[22:23], v[82:83], -v[74:75]
	v_add_f64 v[74:75], v[28:29], -v[86:87]
	;; [unrolled: 1-line block ×3, first 2 shown]
	v_add_f64 v[84:85], v[94:95], v[84:85]
	s_waitcnt vmcnt(0)
	ds_write_b128 v4, v[0:3]
	ds_write_b128 v4, v[78:81] offset:208
	ds_write_b128 v4, v[24:27] offset:416
	;; [unrolled: 1-line block ×6, first 2 shown]
	s_waitcnt lgkmcnt(0)
	s_barrier
	ds_read_b128 v[0:3], v108
	ds_read_b128 v[4:7], v108 offset:1456
	ds_read_b128 v[8:11], v108 offset:8736
	;; [unrolled: 1-line block ×17, first 2 shown]
	s_waitcnt lgkmcnt(14)
	v_mul_f64 v[76:77], v[150:151], v[10:11]
	v_mul_f64 v[78:79], v[150:151], v[8:9]
	s_waitcnt lgkmcnt(10)
	v_mul_f64 v[92:93], v[158:159], v[30:31]
	s_waitcnt lgkmcnt(1)
	v_mul_f64 v[80:81], v[166:167], v[66:67]
	v_mul_f64 v[82:83], v[166:167], v[64:65]
	;; [unrolled: 1-line block ×5, first 2 shown]
	v_fma_f64 v[76:77], v[148:149], v[8:9], v[76:77]
	v_fma_f64 v[78:79], v[148:149], v[10:11], -v[78:79]
	v_mul_f64 v[8:9], v[142:143], v[18:19]
	v_mul_f64 v[10:11], v[142:143], v[16:17]
	v_fma_f64 v[64:65], v[164:165], v[64:65], v[80:81]
	v_fma_f64 v[66:67], v[164:165], v[66:67], -v[82:83]
	v_mul_f64 v[80:81], v[158:159], v[26:27]
	v_mul_f64 v[82:83], v[158:159], v[24:25]
	v_fma_f64 v[28:29], v[156:157], v[28:29], v[92:93]
	v_fma_f64 v[30:31], v[156:157], v[30:31], -v[94:95]
	v_fma_f64 v[84:85], v[140:141], v[16:17], v[8:9]
	v_fma_f64 v[86:87], v[140:141], v[18:19], -v[10:11]
	ds_read_b128 v[8:11], v108 offset:23296
	ds_read_b128 v[16:19], v108 offset:24752
	v_fma_f64 v[32:33], v[160:161], v[32:33], v[72:73]
	v_fma_f64 v[80:81], v[156:157], v[24:25], v[80:81]
	v_fma_f64 v[82:83], v[156:157], v[26:27], -v[82:83]
	ds_read_b128 v[24:27], v108 offset:29120
	buffer_load_dword v110, off, s[52:55], 0 offset:420 ; 4-byte Folded Reload
	buffer_load_dword v111, off, s[52:55], 0 offset:424 ; 4-byte Folded Reload
	;; [unrolled: 1-line block ×12, first 2 shown]
	v_fma_f64 v[34:35], v[160:161], v[34:35], -v[74:75]
	v_mul_f64 v[72:73], v[146:147], v[50:51]
	v_mul_f64 v[74:75], v[146:147], v[48:49]
	;; [unrolled: 1-line block ×4, first 2 shown]
	v_fma_f64 v[48:49], v[144:145], v[48:49], v[72:73]
	v_fma_f64 v[50:51], v[144:145], v[50:51], -v[74:75]
	v_mul_f64 v[72:73], v[162:163], v[42:43]
	v_mul_f64 v[74:75], v[162:163], v[40:41]
	v_fma_f64 v[56:57], v[144:145], v[56:57], v[88:89]
	v_fma_f64 v[58:59], v[144:145], v[58:59], -v[90:91]
	s_waitcnt lgkmcnt(2)
	v_mul_f64 v[88:89], v[166:167], v[10:11]
	v_mul_f64 v[90:91], v[166:167], v[8:9]
	v_fma_f64 v[40:41], v[160:161], v[40:41], v[72:73]
	v_fma_f64 v[42:43], v[160:161], v[42:43], -v[74:75]
	v_mul_f64 v[72:73], v[150:151], v[14:15]
	v_mul_f64 v[74:75], v[150:151], v[12:13]
	v_fma_f64 v[88:89], v[164:165], v[8:9], v[88:89]
	v_fma_f64 v[90:91], v[164:165], v[10:11], -v[90:91]
	v_fma_f64 v[72:73], v[148:149], v[12:13], v[72:73]
	v_fma_f64 v[74:75], v[148:149], v[14:15], -v[74:75]
	v_mul_f64 v[12:13], v[142:143], v[22:23]
	v_mul_f64 v[14:15], v[142:143], v[20:21]
	v_fma_f64 v[100:101], v[140:141], v[20:21], v[12:13]
	v_fma_f64 v[102:103], v[140:141], v[22:23], -v[14:15]
	s_waitcnt vmcnt(8)
	v_mul_f64 v[96:97], v[112:113], v[46:47]
	v_mul_f64 v[98:99], v[112:113], v[44:45]
	s_waitcnt vmcnt(0)
	v_mul_f64 v[12:13], v[116:117], v[62:63]
	v_mul_f64 v[14:15], v[116:117], v[60:61]
	;; [unrolled: 1-line block ×4, first 2 shown]
	v_fma_f64 v[92:93], v[110:111], v[44:45], v[96:97]
	v_fma_f64 v[94:95], v[110:111], v[46:47], -v[98:99]
	buffer_load_dword v110, off, s[52:55], 0 offset:372 ; 4-byte Folded Reload
	buffer_load_dword v111, off, s[52:55], 0 offset:376 ; 4-byte Folded Reload
	;; [unrolled: 1-line block ×4, first 2 shown]
	s_waitcnt lgkmcnt(1)
	v_mul_f64 v[44:45], v[190:191], v[18:19]
	v_mul_f64 v[46:47], v[190:191], v[16:17]
	v_fma_f64 v[60:61], v[114:115], v[60:61], v[12:13]
	v_fma_f64 v[62:63], v[114:115], v[62:63], -v[14:15]
	v_add_f64 v[12:13], v[32:33], v[80:81]
	v_add_f64 v[14:15], v[34:35], v[82:83]
	v_fma_f64 v[96:97], v[118:119], v[52:53], v[8:9]
	v_fma_f64 v[98:99], v[118:119], v[54:55], -v[10:11]
	v_fma_f64 v[106:107], v[188:189], v[16:17], v[44:45]
	v_add_f64 v[16:17], v[32:33], -v[80:81]
	v_add_f64 v[32:33], v[76:77], -v[64:65]
	v_add_f64 v[44:45], v[48:49], v[84:85]
	v_add_f64 v[48:49], v[84:85], -v[48:49]
	s_waitcnt lgkmcnt(0)
	v_mul_f64 v[8:9], v[170:171], v[26:27]
	v_mul_f64 v[10:11], v[170:171], v[24:25]
	s_waitcnt vmcnt(0)
	s_barrier
	v_add_f64 v[80:81], v[48:49], -v[32:33]
	v_mul_f64 v[20:21], v[112:113], v[70:71]
	v_mul_f64 v[22:23], v[112:113], v[68:69]
	v_fma_f64 v[68:69], v[110:111], v[68:69], v[20:21]
	v_fma_f64 v[70:71], v[110:111], v[70:71], -v[22:23]
	v_add_f64 v[20:21], v[76:77], v[64:65]
	v_add_f64 v[22:23], v[78:79], v[66:67]
	v_fma_f64 v[110:111], v[188:189], v[18:19], -v[46:47]
	v_add_f64 v[18:19], v[34:35], -v[82:83]
	v_add_f64 v[34:35], v[78:79], -v[66:67]
	v_add_f64 v[46:47], v[50:51], v[86:87]
	v_add_f64 v[50:51], v[86:87], -v[50:51]
	v_add_f64 v[76:77], v[48:49], v[32:33]
	v_add_f64 v[52:53], v[20:21], v[12:13]
	;; [unrolled: 1-line block ×3, first 2 shown]
	v_add_f64 v[64:65], v[20:21], -v[12:13]
	v_add_f64 v[66:67], v[22:23], -v[14:15]
	;; [unrolled: 1-line block ×6, first 2 shown]
	v_add_f64 v[78:79], v[50:51], v[34:35]
	v_add_f64 v[82:83], v[50:51], -v[34:35]
	v_add_f64 v[44:45], v[44:45], v[52:53]
	v_add_f64 v[46:47], v[46:47], v[54:55]
	v_add_f64 v[48:49], v[16:17], -v[48:49]
	v_add_f64 v[50:51], v[18:19], -v[50:51]
	;; [unrolled: 1-line block ×4, first 2 shown]
	v_add_f64 v[16:17], v[76:77], v[16:17]
	v_add_f64 v[18:19], v[78:79], v[18:19]
	;; [unrolled: 1-line block ×4, first 2 shown]
	v_mul_f64 v[12:13], v[12:13], s[2:3]
	v_mul_f64 v[14:15], v[14:15], s[2:3]
	v_mul_f64 v[52:53], v[20:21], s[0:1]
	v_mul_f64 v[54:55], v[22:23], s[0:1]
	v_mul_f64 v[76:77], v[80:81], s[20:21]
	v_mul_f64 v[78:79], v[82:83], s[20:21]
	v_mul_f64 v[80:81], v[32:33], s[14:15]
	v_mul_f64 v[82:83], v[34:35], s[14:15]
	v_fma_f64 v[44:45], v[44:45], s[24:25], v[0:1]
	v_fma_f64 v[46:47], v[46:47], s[24:25], v[2:3]
	;; [unrolled: 1-line block ×4, first 2 shown]
	v_fma_f64 v[52:53], v[64:65], s[4:5], -v[52:53]
	v_fma_f64 v[54:55], v[66:67], s[4:5], -v[54:55]
	;; [unrolled: 1-line block ×6, first 2 shown]
	v_fma_f64 v[64:65], v[48:49], s[16:17], v[76:77]
	v_fma_f64 v[66:67], v[50:51], s[16:17], v[78:79]
	v_fma_f64 v[48:49], v[48:49], s[18:19], -v[80:81]
	v_fma_f64 v[50:51], v[50:51], s[18:19], -v[82:83]
	v_add_f64 v[76:77], v[20:21], v[44:45]
	v_add_f64 v[78:79], v[22:23], v[46:47]
	;; [unrolled: 1-line block ×4, first 2 shown]
	v_fma_f64 v[34:35], v[18:19], s[22:23], v[34:35]
	v_fma_f64 v[32:33], v[16:17], s[22:23], v[32:33]
	v_add_f64 v[44:45], v[12:13], v[44:45]
	v_add_f64 v[46:47], v[14:15], v[46:47]
	v_fma_f64 v[52:53], v[18:19], s[22:23], v[66:67]
	v_fma_f64 v[54:55], v[16:17], s[22:23], v[64:65]
	;; [unrolled: 1-line block ×4, first 2 shown]
	v_add_f64 v[16:17], v[20:21], -v[34:35]
	v_add_f64 v[18:19], v[32:33], v[22:23]
	v_add_f64 v[20:21], v[34:35], v[20:21]
	v_add_f64 v[22:23], v[22:23], -v[32:33]
	v_add_f64 v[32:33], v[40:41], v[28:29]
	v_add_f64 v[34:35], v[42:43], v[30:31]
	v_add_f64 v[28:29], v[40:41], -v[28:29]
	v_add_f64 v[30:31], v[42:43], -v[30:31]
	v_add_f64 v[40:41], v[72:73], v[88:89]
	v_add_f64 v[42:43], v[74:75], v[90:91]
	v_fma_f64 v[64:65], v[168:169], v[24:25], v[8:9]
	v_fma_f64 v[66:67], v[168:169], v[26:27], -v[10:11]
	v_add_f64 v[12:13], v[50:51], v[44:45]
	v_add_f64 v[14:15], v[46:47], -v[48:49]
	v_add_f64 v[24:25], v[44:45], -v[50:51]
	v_add_f64 v[26:27], v[48:49], v[46:47]
	v_add_f64 v[44:45], v[72:73], -v[88:89]
	v_add_f64 v[46:47], v[74:75], -v[90:91]
	v_add_f64 v[48:49], v[56:57], v[100:101]
	v_add_f64 v[50:51], v[58:59], v[102:103]
	v_add_f64 v[56:57], v[100:101], -v[56:57]
	v_add_f64 v[58:59], v[102:103], -v[58:59]
	v_add_f64 v[72:73], v[40:41], v[32:33]
	v_add_f64 v[74:75], v[42:43], v[34:35]
	v_add_f64 v[80:81], v[40:41], -v[32:33]
	v_add_f64 v[82:83], v[42:43], -v[34:35]
	;; [unrolled: 1-line block ×6, first 2 shown]
	v_add_f64 v[84:85], v[56:57], v[44:45]
	v_add_f64 v[86:87], v[58:59], v[46:47]
	v_add_f64 v[88:89], v[56:57], -v[44:45]
	v_add_f64 v[90:91], v[58:59], -v[46:47]
	v_add_f64 v[48:49], v[48:49], v[72:73]
	v_add_f64 v[50:51], v[50:51], v[74:75]
	v_add_f64 v[44:45], v[44:45], -v[28:29]
	v_add_f64 v[46:47], v[46:47], -v[30:31]
	;; [unrolled: 1-line block ×4, first 2 shown]
	v_add_f64 v[28:29], v[84:85], v[28:29]
	v_add_f64 v[30:31], v[86:87], v[30:31]
	;; [unrolled: 1-line block ×4, first 2 shown]
	v_mul_f64 v[32:33], v[32:33], s[2:3]
	v_mul_f64 v[34:35], v[34:35], s[2:3]
	;; [unrolled: 1-line block ×8, first 2 shown]
	v_fma_f64 v[48:49], v[48:49], s[24:25], v[4:5]
	v_fma_f64 v[50:51], v[50:51], s[24:25], v[6:7]
	;; [unrolled: 1-line block ×4, first 2 shown]
	v_fma_f64 v[72:73], v[80:81], s[4:5], -v[72:73]
	v_fma_f64 v[74:75], v[82:83], s[4:5], -v[74:75]
	;; [unrolled: 1-line block ×4, first 2 shown]
	v_fma_f64 v[80:81], v[56:57], s[16:17], v[84:85]
	v_fma_f64 v[82:83], v[58:59], s[16:17], v[86:87]
	v_fma_f64 v[44:45], v[44:45], s[14:15], -v[84:85]
	v_fma_f64 v[46:47], v[46:47], s[14:15], -v[86:87]
	;; [unrolled: 1-line block ×4, first 2 shown]
	v_add_f64 v[84:85], v[40:41], v[48:49]
	v_add_f64 v[86:87], v[42:43], v[50:51]
	;; [unrolled: 1-line block ×6, first 2 shown]
	v_fma_f64 v[56:57], v[28:29], s[22:23], v[56:57]
	v_fma_f64 v[58:59], v[30:31], s[22:23], v[58:59]
	;; [unrolled: 1-line block ×4, first 2 shown]
	v_add_f64 v[8:9], v[52:53], v[76:77]
	v_add_f64 v[10:11], v[78:79], -v[54:55]
	v_fma_f64 v[82:83], v[30:31], s[22:23], v[82:83]
	v_fma_f64 v[80:81], v[28:29], s[22:23], v[80:81]
	v_add_f64 v[28:29], v[76:77], -v[52:53]
	v_add_f64 v[30:31], v[54:55], v[78:79]
	v_add_f64 v[40:41], v[58:59], v[88:89]
	v_add_f64 v[42:43], v[90:91], -v[56:57]
	v_add_f64 v[44:45], v[72:73], -v[48:49]
	v_add_f64 v[46:47], v[50:51], v[74:75]
	v_add_f64 v[48:49], v[48:49], v[72:73]
	v_add_f64 v[50:51], v[74:75], -v[50:51]
	v_add_f64 v[52:53], v[88:89], -v[58:59]
	v_add_f64 v[54:55], v[56:57], v[90:91]
	v_add_f64 v[56:57], v[92:93], v[64:65]
	;; [unrolled: 1-line block ×5, first 2 shown]
	v_add_f64 v[64:65], v[92:93], -v[64:65]
	v_add_f64 v[66:67], v[94:95], -v[66:67]
	;; [unrolled: 1-line block ×4, first 2 shown]
	v_add_f64 v[88:89], v[60:61], v[68:69]
	v_add_f64 v[90:91], v[62:63], v[70:71]
	v_add_f64 v[60:61], v[68:69], -v[60:61]
	v_add_f64 v[62:63], v[70:71], -v[62:63]
	v_add_f64 v[68:69], v[72:73], v[56:57]
	v_add_f64 v[70:71], v[74:75], v[58:59]
	v_add_f64 v[92:93], v[72:73], -v[56:57]
	v_add_f64 v[94:95], v[74:75], -v[58:59]
	;; [unrolled: 1-line block ×6, first 2 shown]
	v_add_f64 v[96:97], v[60:61], v[76:77]
	v_add_f64 v[98:99], v[62:63], v[78:79]
	v_add_f64 v[100:101], v[60:61], -v[76:77]
	v_add_f64 v[102:103], v[62:63], -v[78:79]
	v_add_f64 v[68:69], v[88:89], v[68:69]
	v_add_f64 v[70:71], v[90:91], v[70:71]
	v_add_f64 v[76:77], v[76:77], -v[64:65]
	v_add_f64 v[78:79], v[78:79], -v[66:67]
	;; [unrolled: 1-line block ×4, first 2 shown]
	v_add_f64 v[64:65], v[96:97], v[64:65]
	v_add_f64 v[66:67], v[98:99], v[66:67]
	;; [unrolled: 1-line block ×4, first 2 shown]
	v_mul_f64 v[56:57], v[56:57], s[2:3]
	v_mul_f64 v[58:59], v[58:59], s[2:3]
	;; [unrolled: 1-line block ×8, first 2 shown]
	v_fma_f64 v[68:69], v[68:69], s[24:25], v[36:37]
	v_fma_f64 v[70:71], v[70:71], s[24:25], v[38:39]
	;; [unrolled: 1-line block ×4, first 2 shown]
	v_fma_f64 v[88:89], v[92:93], s[4:5], -v[88:89]
	v_fma_f64 v[90:91], v[94:95], s[4:5], -v[90:91]
	;; [unrolled: 1-line block ×4, first 2 shown]
	v_fma_f64 v[92:93], v[60:61], s[16:17], v[96:97]
	v_fma_f64 v[94:95], v[62:63], s[16:17], v[98:99]
	v_fma_f64 v[76:77], v[76:77], s[14:15], -v[96:97]
	v_fma_f64 v[78:79], v[78:79], s[14:15], -v[98:99]
	;; [unrolled: 1-line block ×4, first 2 shown]
	v_add_f64 v[96:97], v[72:73], v[68:69]
	v_add_f64 v[98:99], v[74:75], v[70:71]
	;; [unrolled: 1-line block ×6, first 2 shown]
	v_fma_f64 v[94:95], v[66:67], s[22:23], v[94:95]
	v_fma_f64 v[92:93], v[64:65], s[22:23], v[92:93]
	;; [unrolled: 1-line block ×6, first 2 shown]
	v_add_f64 v[32:33], v[82:83], v[84:85]
	v_add_f64 v[34:35], v[86:87], -v[80:81]
	v_add_f64 v[56:57], v[84:85], -v[82:83]
	v_add_f64 v[58:59], v[80:81], v[86:87]
	v_add_f64 v[60:61], v[94:95], v[96:97]
	v_add_f64 v[62:63], v[98:99], -v[92:93]
	v_add_f64 v[64:65], v[100:101], v[88:89]
	v_add_f64 v[66:67], v[90:91], -v[102:103]
	v_add_f64 v[68:69], v[72:73], -v[78:79]
	v_add_f64 v[70:71], v[76:77], v[74:75]
	v_add_f64 v[72:73], v[78:79], v[72:73]
	v_add_f64 v[74:75], v[74:75], -v[76:77]
	v_add_f64 v[76:77], v[88:89], -v[100:101]
	v_add_f64 v[78:79], v[102:103], v[90:91]
	v_add_f64 v[80:81], v[96:97], -v[94:95]
	v_add_f64 v[82:83], v[92:93], v[98:99]
	ds_write_b128 v108, v[0:3]
	ds_write_b128 v108, v[8:11] offset:1456
	ds_write_b128 v108, v[12:15] offset:2912
	;; [unrolled: 1-line block ×20, first 2 shown]
	s_waitcnt lgkmcnt(0)
	s_barrier
	ds_read_b128 v[0:3], v108 offset:10192
	ds_read_b128 v[4:7], v108
	ds_read_b128 v[8:11], v108 offset:1456
	ds_read_b128 v[12:15], v108 offset:20384
	;; [unrolled: 1-line block ×18, first 2 shown]
	buffer_load_dword v96, off, s[52:55], 0 offset:436 ; 4-byte Folded Reload
	buffer_load_dword v97, off, s[52:55], 0 offset:440 ; 4-byte Folded Reload
	;; [unrolled: 1-line block ×4, first 2 shown]
	s_waitcnt lgkmcnt(14)
	v_mul_f64 v[84:85], v[208:209], v[2:3]
	v_mul_f64 v[86:87], v[208:209], v[0:1]
	s_mov_b32 s0, 0xe8584caa
	s_mov_b32 s1, 0xbfebb67a
	;; [unrolled: 1-line block ×4, first 2 shown]
	v_fma_f64 v[84:85], v[206:207], v[0:1], v[84:85]
	v_mul_f64 v[0:1], v[254:255], v[18:19]
	v_fma_f64 v[2:3], v[206:207], v[2:3], -v[86:87]
	v_mul_f64 v[86:87], v[254:255], v[16:17]
	v_fma_f64 v[16:17], v[252:253], v[16:17], v[0:1]
	v_fma_f64 v[18:19], v[252:253], v[18:19], -v[86:87]
	s_waitcnt vmcnt(0)
	v_mul_f64 v[88:89], v[98:99], v[14:15]
	v_mul_f64 v[90:91], v[98:99], v[12:13]
	buffer_load_dword v98, off, s[52:55], 0 offset:452 ; 4-byte Folded Reload
	buffer_load_dword v99, off, s[52:55], 0 offset:456 ; 4-byte Folded Reload
	;; [unrolled: 1-line block ×4, first 2 shown]
	ds_read_b128 v[80:83], v108 offset:29120
	v_fma_f64 v[12:13], v[96:97], v[12:13], v[88:89]
	v_fma_f64 v[14:15], v[96:97], v[14:15], -v[90:91]
	s_waitcnt vmcnt(0)
	v_mul_f64 v[92:93], v[100:101], v[22:23]
	v_mul_f64 v[94:95], v[100:101], v[20:21]
	v_fma_f64 v[20:21], v[98:99], v[20:21], v[92:93]
	v_fma_f64 v[22:23], v[98:99], v[22:23], -v[94:95]
	buffer_load_dword v96, off, s[52:55], 0 offset:468 ; 4-byte Folded Reload
	buffer_load_dword v97, off, s[52:55], 0 offset:472 ; 4-byte Folded Reload
	;; [unrolled: 1-line block ×4, first 2 shown]
	s_waitcnt vmcnt(0) lgkmcnt(14)
	v_mul_f64 v[88:89], v[98:99], v[26:27]
	v_mul_f64 v[90:91], v[98:99], v[24:25]
	buffer_load_dword v98, off, s[52:55], 0 offset:484 ; 4-byte Folded Reload
	buffer_load_dword v99, off, s[52:55], 0 offset:488 ; 4-byte Folded Reload
	;; [unrolled: 1-line block ×8, first 2 shown]
	v_fma_f64 v[88:89], v[96:97], v[24:25], v[88:89]
	v_fma_f64 v[24:25], v[96:97], v[26:27], -v[90:91]
	s_waitcnt lgkmcnt(8)
	v_mul_f64 v[90:91], v[226:227], v[48:49]
	s_waitcnt vmcnt(4)
	v_mul_f64 v[0:1], v[100:101], v[38:39]
	v_mul_f64 v[92:93], v[100:101], v[36:37]
	buffer_load_dword v100, off, s[52:55], 0 offset:500 ; 4-byte Folded Reload
	buffer_load_dword v101, off, s[52:55], 0 offset:504 ; 4-byte Folded Reload
	;; [unrolled: 1-line block ×4, first 2 shown]
	s_waitcnt vmcnt(4)
	v_mul_f64 v[86:87], v[111:112], v[44:45]
	v_mul_f64 v[94:95], v[111:112], v[46:47]
	v_fma_f64 v[36:37], v[98:99], v[36:37], v[0:1]
	v_fma_f64 v[38:39], v[98:99], v[38:39], -v[92:93]
	buffer_load_dword v96, off, s[52:55], 0 offset:532 ; 4-byte Folded Reload
	buffer_load_dword v97, off, s[52:55], 0 offset:536 ; 4-byte Folded Reload
	buffer_load_dword v98, off, s[52:55], 0 offset:540 ; 4-byte Folded Reload
	buffer_load_dword v99, off, s[52:55], 0 offset:544 ; 4-byte Folded Reload
	v_fma_f64 v[46:47], v[109:110], v[46:47], -v[86:87]
	v_mul_f64 v[86:87], v[226:227], v[50:51]
	v_fma_f64 v[44:45], v[109:110], v[44:45], v[94:95]
	s_waitcnt lgkmcnt(2)
	v_mul_f64 v[94:95], v[230:231], v[74:75]
	v_fma_f64 v[50:51], v[224:225], v[50:51], -v[90:91]
	v_fma_f64 v[48:49], v[224:225], v[48:49], v[86:87]
	v_mul_f64 v[86:87], v[236:237], v[66:67]
	v_fma_f64 v[90:91], v[228:229], v[72:73], v[94:95]
	s_waitcnt lgkmcnt(0)
	v_mul_f64 v[94:95], v[198:199], v[80:81]
	v_fma_f64 v[86:87], v[234:235], v[64:65], v[86:87]
	s_waitcnt vmcnt(4)
	v_mul_f64 v[26:27], v[102:103], v[42:43]
	v_mul_f64 v[0:1], v[102:103], v[40:41]
	v_fma_f64 v[40:41], v[100:101], v[40:41], v[26:27]
	s_waitcnt vmcnt(0)
	v_mul_f64 v[26:27], v[98:99], v[62:63]
	v_mul_f64 v[92:93], v[98:99], v[60:61]
	v_fma_f64 v[42:43], v[100:101], v[42:43], -v[0:1]
	v_mul_f64 v[0:1], v[230:231], v[72:73]
	v_add_f64 v[72:73], v[84:85], v[12:13]
	v_fma_f64 v[60:61], v[96:97], v[60:61], v[26:27]
	v_mul_f64 v[26:27], v[236:237], v[64:65]
	v_mul_f64 v[64:65], v[240:241], v[76:77]
	v_fma_f64 v[62:63], v[96:97], v[62:63], -v[92:93]
	v_fma_f64 v[74:75], v[228:229], v[74:75], -v[0:1]
	v_mul_f64 v[0:1], v[240:241], v[78:79]
	v_mul_f64 v[92:93], v[198:199], v[82:83]
	v_fma_f64 v[72:73], v[72:73], -0.5, v[4:5]
	v_add_f64 v[96:97], v[2:3], -v[14:15]
	v_fma_f64 v[66:67], v[234:235], v[66:67], -v[26:27]
	v_add_f64 v[26:27], v[4:5], v[84:85]
	v_fma_f64 v[78:79], v[238:239], v[78:79], -v[64:65]
	v_add_f64 v[64:65], v[2:3], v[14:15]
	v_fma_f64 v[76:77], v[238:239], v[76:77], v[0:1]
	v_fma_f64 v[80:81], v[196:197], v[80:81], v[92:93]
	v_add_f64 v[2:3], v[6:7], v[2:3]
	v_fma_f64 v[4:5], v[96:97], s[0:1], v[72:73]
	v_add_f64 v[84:85], v[84:85], -v[12:13]
	v_add_f64 v[0:1], v[26:27], v[12:13]
	v_add_f64 v[26:27], v[20:21], v[16:17]
	v_fma_f64 v[64:65], v[64:65], -0.5, v[6:7]
	v_fma_f64 v[12:13], v[96:97], s[2:3], v[72:73]
	v_add_f64 v[72:73], v[8:9], v[20:21]
	v_add_f64 v[92:93], v[22:23], v[18:19]
	v_fma_f64 v[82:83], v[196:197], v[82:83], -v[94:95]
	v_add_f64 v[2:3], v[2:3], v[14:15]
	v_add_f64 v[94:95], v[22:23], -v[18:19]
	v_fma_f64 v[26:27], v[26:27], -0.5, v[8:9]
	v_fma_f64 v[6:7], v[84:85], s[2:3], v[64:65]
	v_fma_f64 v[14:15], v[84:85], s[0:1], v[64:65]
	v_add_f64 v[22:23], v[10:11], v[22:23]
	v_add_f64 v[8:9], v[72:73], v[16:17]
	v_add_f64 v[64:65], v[88:89], v[36:37]
	v_fma_f64 v[72:73], v[92:93], -0.5, v[10:11]
	v_add_f64 v[84:85], v[20:21], -v[16:17]
	v_fma_f64 v[16:17], v[94:95], s[0:1], v[26:27]
	v_fma_f64 v[20:21], v[94:95], s[2:3], v[26:27]
	v_add_f64 v[26:27], v[28:29], v[88:89]
	v_add_f64 v[10:11], v[22:23], v[18:19]
	v_add_f64 v[92:93], v[24:25], v[38:39]
	v_fma_f64 v[64:65], v[64:65], -0.5, v[28:29]
	v_add_f64 v[94:95], v[24:25], -v[38:39]
	v_fma_f64 v[18:19], v[84:85], s[2:3], v[72:73]
	v_fma_f64 v[22:23], v[84:85], s[0:1], v[72:73]
	v_add_f64 v[72:73], v[30:31], v[24:25]
	v_add_f64 v[84:85], v[44:45], v[40:41]
	v_add_f64 v[24:25], v[26:27], v[36:37]
	v_fma_f64 v[92:93], v[92:93], -0.5, v[30:31]
	v_add_f64 v[88:89], v[88:89], -v[36:37]
	v_fma_f64 v[28:29], v[94:95], s[0:1], v[64:65]
	v_fma_f64 v[36:37], v[94:95], s[2:3], v[64:65]
	v_add_f64 v[64:65], v[32:33], v[44:45]
	v_add_f64 v[26:27], v[72:73], v[38:39]
	v_add_f64 v[72:73], v[46:47], v[42:43]
	v_fma_f64 v[84:85], v[84:85], -0.5, v[32:33]
	v_add_f64 v[94:95], v[46:47], -v[42:43]
	v_fma_f64 v[30:31], v[88:89], s[2:3], v[92:93]
	v_add_f64 v[46:47], v[34:35], v[46:47]
	v_fma_f64 v[38:39], v[88:89], s[0:1], v[92:93]
	v_add_f64 v[32:33], v[64:65], v[40:41]
	v_add_f64 v[64:65], v[48:49], v[60:61]
	v_fma_f64 v[72:73], v[72:73], -0.5, v[34:35]
	v_add_f64 v[88:89], v[44:45], -v[40:41]
	v_fma_f64 v[40:41], v[94:95], s[0:1], v[84:85]
	v_fma_f64 v[44:45], v[94:95], s[2:3], v[84:85]
	v_add_f64 v[84:85], v[50:51], v[62:63]
	v_add_f64 v[34:35], v[46:47], v[42:43]
	v_add_f64 v[92:93], v[52:53], v[48:49]
	v_fma_f64 v[64:65], v[64:65], -0.5, v[52:53]
	v_add_f64 v[94:95], v[50:51], -v[62:63]
	v_fma_f64 v[42:43], v[88:89], s[2:3], v[72:73]
	v_add_f64 v[96:97], v[90:91], v[86:87]
	v_fma_f64 v[46:47], v[88:89], s[0:1], v[72:73]
	v_add_f64 v[50:51], v[54:55], v[50:51]
	v_fma_f64 v[72:73], v[84:85], -0.5, v[54:55]
	v_add_f64 v[84:85], v[48:49], -v[60:61]
	v_add_f64 v[88:89], v[56:57], v[90:91]
	v_add_f64 v[48:49], v[92:93], v[60:61]
	v_fma_f64 v[52:53], v[94:95], s[0:1], v[64:65]
	v_fma_f64 v[92:93], v[96:97], -0.5, v[56:57]
	v_add_f64 v[96:97], v[74:75], -v[66:67]
	v_fma_f64 v[60:61], v[94:95], s[2:3], v[64:65]
	v_add_f64 v[50:51], v[50:51], v[62:63]
	v_fma_f64 v[54:55], v[84:85], s[2:3], v[72:73]
	v_add_f64 v[94:95], v[74:75], v[66:67]
	;; [unrolled: 2-line block ×3, first 2 shown]
	v_add_f64 v[84:85], v[76:77], v[80:81]
	v_add_f64 v[88:89], v[78:79], v[82:83]
	v_fma_f64 v[64:65], v[96:97], s[0:1], v[92:93]
	v_fma_f64 v[72:73], v[96:97], s[2:3], v[92:93]
	v_add_f64 v[74:75], v[58:59], v[74:75]
	v_fma_f64 v[92:93], v[94:95], -0.5, v[58:59]
	v_add_f64 v[86:87], v[90:91], -v[86:87]
	v_add_f64 v[90:91], v[68:69], v[76:77]
	v_fma_f64 v[84:85], v[84:85], -0.5, v[68:69]
	v_add_f64 v[94:95], v[78:79], -v[82:83]
	;; [unrolled: 3-line block ×3, first 2 shown]
	v_add_f64 v[58:59], v[74:75], v[66:67]
	v_fma_f64 v[66:67], v[86:87], s[2:3], v[92:93]
	v_fma_f64 v[74:75], v[86:87], s[0:1], v[92:93]
	v_add_f64 v[68:69], v[90:91], v[80:81]
	v_fma_f64 v[76:77], v[94:95], s[0:1], v[84:85]
	v_fma_f64 v[80:81], v[94:95], s[2:3], v[84:85]
	;; [unrolled: 3-line block ×3, first 2 shown]
	ds_write_b128 v108, v[0:3]
	ds_write_b128 v108, v[4:7] offset:10192
	ds_write_b128 v108, v[12:15] offset:20384
	;; [unrolled: 1-line block ×20, first 2 shown]
	s_waitcnt lgkmcnt(0)
	s_barrier
	ds_read_b128 v[0:3], v108
	buffer_load_dword v4, off, s[52:55], 0 offset:84 ; 4-byte Folded Reload
	buffer_load_dword v5, off, s[52:55], 0 offset:88 ; 4-byte Folded Reload
	s_mov_b32 s2, 0xa36ec936
	s_mov_b32 s3, 0x3f4125a4
	s_waitcnt vmcnt(1)
	v_mov_b32_e32 v14, v4
	s_waitcnt vmcnt(0)
	ds_read_b128 v[4:7], v108 offset:2352
	buffer_load_dword v18, off, s[52:55], 0 offset:284 ; 4-byte Folded Reload
	buffer_load_dword v19, off, s[52:55], 0 offset:288 ; 4-byte Folded Reload
	;; [unrolled: 1-line block ×4, first 2 shown]
	buffer_load_dword v17, off, s[52:55], 0 ; 4-byte Folded Reload
	v_mad_u64_u32 v[8:9], s[0:1], s10, v14, 0
	s_waitcnt vmcnt(1) lgkmcnt(1)
	v_mul_f64 v[10:11], v[20:21], v[2:3]
	v_mul_f64 v[12:13], v[20:21], v[0:1]
	v_fma_f64 v[0:1], v[18:19], v[0:1], v[10:11]
	v_fma_f64 v[2:3], v[18:19], v[2:3], -v[12:13]
	buffer_load_dword v19, off, s[52:55], 0 offset:204 ; 4-byte Folded Reload
	buffer_load_dword v20, off, s[52:55], 0 offset:208 ; 4-byte Folded Reload
	;; [unrolled: 1-line block ×4, first 2 shown]
	v_mad_u64_u32 v[14:15], s[0:1], s11, v14, v[9:10]
	s_waitcnt vmcnt(4)
	v_mad_u64_u32 v[15:16], s[0:1], s8, v17, 0
	v_mov_b32_e32 v9, v14
	v_mul_f64 v[0:1], v[0:1], s[2:3]
	v_mov_b32_e32 v10, v16
	v_mad_u64_u32 v[10:11], s[0:1], s9, v17, v[10:11]
	v_mul_f64 v[2:3], v[2:3], s[2:3]
	v_lshlrev_b64 v[8:9], 4, v[8:9]
	v_mov_b32_e32 v16, v10
	v_mov_b32_e32 v14, s7
	v_add_co_u32_e64 v17, s[0:1], s6, v8
	v_addc_co_u32_e64 v18, s[0:1], v14, v9, s[0:1]
	v_lshlrev_b64 v[8:9], 4, v[15:16]
	v_add_co_u32_e64 v14, s[0:1], v17, v8
	v_addc_co_u32_e64 v15, s[0:1], v18, v9, s[0:1]
	global_store_dwordx4 v[14:15], v[0:3], off
	s_mul_i32 s0, s9, 0x93
	s_mul_hi_u32 s1, s8, 0x93
	s_add_i32 s1, s1, s0
	s_mul_i32 s0, s8, 0x93
	s_lshl_b64 s[4:5], s[0:1], 4
	v_mov_b32_e32 v26, s5
	v_add_co_u32_e64 v14, s[0:1], s4, v14
	v_addc_co_u32_e64 v15, s[0:1], v15, v26, s[0:1]
	s_waitcnt vmcnt(1) lgkmcnt(0)
	v_mul_f64 v[10:11], v[21:22], v[6:7]
	v_mul_f64 v[12:13], v[21:22], v[4:5]
	v_fma_f64 v[10:11], v[19:20], v[4:5], v[10:11]
	v_fma_f64 v[12:13], v[19:20], v[6:7], -v[12:13]
	ds_read_b128 v[4:7], v108 offset:4704
	v_mul_f64 v[0:1], v[10:11], s[2:3]
	ds_read_b128 v[8:11], v108 offset:7056
	buffer_load_dword v18, off, s[52:55], 0 offset:220 ; 4-byte Folded Reload
	buffer_load_dword v19, off, s[52:55], 0 offset:224 ; 4-byte Folded Reload
	;; [unrolled: 1-line block ×4, first 2 shown]
	v_mul_f64 v[2:3], v[12:13], s[2:3]
	s_waitcnt vmcnt(0) lgkmcnt(1)
	v_mul_f64 v[12:13], v[20:21], v[6:7]
	v_mul_f64 v[16:17], v[20:21], v[4:5]
	buffer_load_dword v20, off, s[52:55], 0 offset:108 ; 4-byte Folded Reload
	buffer_load_dword v21, off, s[52:55], 0 offset:112 ; 4-byte Folded Reload
	;; [unrolled: 1-line block ×4, first 2 shown]
	v_fma_f64 v[4:5], v[18:19], v[4:5], v[12:13]
	v_fma_f64 v[12:13], v[18:19], v[6:7], -v[16:17]
	global_store_dwordx4 v[14:15], v[0:3], off
	v_add_co_u32_e64 v14, s[0:1], s4, v14
	v_addc_co_u32_e64 v15, s[0:1], v15, v26, s[0:1]
	v_mul_f64 v[0:1], v[4:5], s[2:3]
	ds_read_b128 v[4:7], v108 offset:9408
	v_mul_f64 v[2:3], v[12:13], s[2:3]
	s_waitcnt vmcnt(1) lgkmcnt(1)
	v_mul_f64 v[16:17], v[22:23], v[10:11]
	v_mul_f64 v[18:19], v[22:23], v[8:9]
	v_fma_f64 v[12:13], v[20:21], v[8:9], v[16:17]
	v_fma_f64 v[16:17], v[20:21], v[10:11], -v[18:19]
	ds_read_b128 v[8:11], v108 offset:11760
	buffer_load_dword v22, off, s[52:55], 0 offset:236 ; 4-byte Folded Reload
	buffer_load_dword v23, off, s[52:55], 0 offset:240 ; 4-byte Folded Reload
	;; [unrolled: 1-line block ×4, first 2 shown]
	s_waitcnt vmcnt(0) lgkmcnt(1)
	v_mul_f64 v[18:19], v[24:25], v[6:7]
	v_mul_f64 v[20:21], v[24:25], v[4:5]
	global_store_dwordx4 v[14:15], v[0:3], off
	v_add_co_u32_e64 v14, s[0:1], s4, v14
	v_mul_f64 v[0:1], v[12:13], s[2:3]
	v_mul_f64 v[2:3], v[16:17], s[2:3]
	v_addc_co_u32_e64 v15, s[0:1], v15, v26, s[0:1]
	v_fma_f64 v[4:5], v[22:23], v[4:5], v[18:19]
	v_fma_f64 v[12:13], v[22:23], v[6:7], -v[20:21]
	buffer_load_dword v20, off, s[52:55], 0 offset:124 ; 4-byte Folded Reload
	buffer_load_dword v21, off, s[52:55], 0 offset:128 ; 4-byte Folded Reload
	;; [unrolled: 1-line block ×4, first 2 shown]
	s_waitcnt vmcnt(0) lgkmcnt(0)
	v_mul_f64 v[16:17], v[22:23], v[10:11]
	v_mul_f64 v[18:19], v[22:23], v[8:9]
	global_store_dwordx4 v[14:15], v[0:3], off
	v_add_co_u32_e64 v14, s[0:1], s4, v14
	v_mul_f64 v[0:1], v[4:5], s[2:3]
	ds_read_b128 v[4:7], v108 offset:14112
	v_mul_f64 v[2:3], v[12:13], s[2:3]
	v_fma_f64 v[12:13], v[20:21], v[8:9], v[16:17]
	v_fma_f64 v[16:17], v[20:21], v[10:11], -v[18:19]
	ds_read_b128 v[8:11], v108 offset:16464
	buffer_load_dword v22, off, s[52:55], 0 offset:140 ; 4-byte Folded Reload
	buffer_load_dword v23, off, s[52:55], 0 offset:144 ; 4-byte Folded Reload
	;; [unrolled: 1-line block ×4, first 2 shown]
	v_addc_co_u32_e64 v15, s[0:1], v15, v26, s[0:1]
	global_store_dwordx4 v[14:15], v[0:3], off
	s_nop 0
	v_mul_f64 v[0:1], v[12:13], s[2:3]
	v_mul_f64 v[2:3], v[16:17], s[2:3]
	v_add_co_u32_e64 v14, s[0:1], s4, v14
	v_addc_co_u32_e64 v15, s[0:1], v15, v26, s[0:1]
	s_waitcnt vmcnt(1) lgkmcnt(1)
	v_mul_f64 v[18:19], v[24:25], v[6:7]
	v_mul_f64 v[20:21], v[24:25], v[4:5]
	v_fma_f64 v[4:5], v[22:23], v[4:5], v[18:19]
	v_fma_f64 v[12:13], v[22:23], v[6:7], -v[20:21]
	buffer_load_dword v20, off, s[52:55], 0 offset:252 ; 4-byte Folded Reload
	buffer_load_dword v21, off, s[52:55], 0 offset:256 ; 4-byte Folded Reload
	;; [unrolled: 1-line block ×4, first 2 shown]
	s_waitcnt vmcnt(0) lgkmcnt(0)
	v_mul_f64 v[16:17], v[22:23], v[10:11]
	v_mul_f64 v[18:19], v[22:23], v[8:9]
	global_store_dwordx4 v[14:15], v[0:3], off
	v_add_co_u32_e64 v14, s[0:1], s4, v14
	v_mul_f64 v[0:1], v[4:5], s[2:3]
	ds_read_b128 v[4:7], v108 offset:18816
	v_mul_f64 v[2:3], v[12:13], s[2:3]
	v_fma_f64 v[12:13], v[20:21], v[8:9], v[16:17]
	v_fma_f64 v[16:17], v[20:21], v[10:11], -v[18:19]
	ds_read_b128 v[8:11], v108 offset:21168
	buffer_load_dword v22, off, s[52:55], 0 offset:156 ; 4-byte Folded Reload
	buffer_load_dword v23, off, s[52:55], 0 offset:160 ; 4-byte Folded Reload
	;; [unrolled: 1-line block ×4, first 2 shown]
	v_addc_co_u32_e64 v15, s[0:1], v15, v26, s[0:1]
	global_store_dwordx4 v[14:15], v[0:3], off
	s_nop 0
	v_mul_f64 v[0:1], v[12:13], s[2:3]
	v_mul_f64 v[2:3], v[16:17], s[2:3]
	v_add_co_u32_e64 v14, s[0:1], s4, v14
	v_addc_co_u32_e64 v15, s[0:1], v15, v26, s[0:1]
	s_waitcnt vmcnt(1) lgkmcnt(1)
	v_mul_f64 v[18:19], v[24:25], v[6:7]
	v_mul_f64 v[20:21], v[24:25], v[4:5]
	v_fma_f64 v[4:5], v[22:23], v[4:5], v[18:19]
	v_fma_f64 v[12:13], v[22:23], v[6:7], -v[20:21]
	buffer_load_dword v20, off, s[52:55], 0 offset:268 ; 4-byte Folded Reload
	buffer_load_dword v21, off, s[52:55], 0 offset:272 ; 4-byte Folded Reload
	;; [unrolled: 1-line block ×4, first 2 shown]
	s_waitcnt vmcnt(0) lgkmcnt(0)
	v_mul_f64 v[16:17], v[22:23], v[10:11]
	v_mul_f64 v[18:19], v[22:23], v[8:9]
	global_store_dwordx4 v[14:15], v[0:3], off
	v_add_co_u32_e64 v22, s[0:1], s4, v14
	v_mul_f64 v[0:1], v[4:5], s[2:3]
	ds_read_b128 v[4:7], v108 offset:23520
	v_mul_f64 v[2:3], v[12:13], s[2:3]
	v_fma_f64 v[12:13], v[20:21], v[8:9], v[16:17]
	v_fma_f64 v[16:17], v[20:21], v[10:11], -v[18:19]
	ds_read_b128 v[8:11], v108 offset:25872
	buffer_load_dword v27, off, s[52:55], 0 offset:92 ; 4-byte Folded Reload
	buffer_load_dword v28, off, s[52:55], 0 offset:96 ; 4-byte Folded Reload
	;; [unrolled: 1-line block ×4, first 2 shown]
	v_addc_co_u32_e64 v23, s[0:1], v15, v26, s[0:1]
	global_store_dwordx4 v[22:23], v[0:3], off
	s_nop 0
	v_mul_f64 v[0:1], v[12:13], s[2:3]
	ds_read_b128 v[12:15], v108 offset:28224
	v_mul_f64 v[2:3], v[16:17], s[2:3]
	v_add_co_u32_e64 v22, s[0:1], s4, v22
	v_addc_co_u32_e64 v23, s[0:1], v23, v26, s[0:1]
	s_waitcnt vmcnt(1) lgkmcnt(2)
	v_mul_f64 v[18:19], v[29:30], v[6:7]
	v_mul_f64 v[20:21], v[29:30], v[4:5]
	v_fma_f64 v[4:5], v[27:28], v[4:5], v[18:19]
	v_fma_f64 v[6:7], v[27:28], v[6:7], -v[20:21]
	buffer_load_dword v27, off, s[52:55], 0 offset:172 ; 4-byte Folded Reload
	buffer_load_dword v28, off, s[52:55], 0 offset:176 ; 4-byte Folded Reload
	;; [unrolled: 1-line block ×4, first 2 shown]
	s_waitcnt vmcnt(0) lgkmcnt(1)
	v_mul_f64 v[16:17], v[29:30], v[10:11]
	v_mul_f64 v[18:19], v[29:30], v[8:9]
	buffer_load_dword v29, off, s[52:55], 0 offset:188 ; 4-byte Folded Reload
	buffer_load_dword v30, off, s[52:55], 0 offset:192 ; 4-byte Folded Reload
	;; [unrolled: 1-line block ×4, first 2 shown]
	s_waitcnt vmcnt(0) lgkmcnt(0)
	v_mul_f64 v[20:21], v[31:32], v[14:15]
	v_mul_f64 v[24:25], v[31:32], v[12:13]
	global_store_dwordx4 v[22:23], v[0:3], off
	s_nop 0
	v_mul_f64 v[0:1], v[4:5], s[2:3]
	v_mul_f64 v[2:3], v[6:7], s[2:3]
	v_fma_f64 v[4:5], v[27:28], v[8:9], v[16:17]
	v_fma_f64 v[6:7], v[27:28], v[10:11], -v[18:19]
	v_fma_f64 v[8:9], v[29:30], v[12:13], v[20:21]
	v_fma_f64 v[10:11], v[29:30], v[14:15], -v[24:25]
	v_add_co_u32_e64 v12, s[0:1], s4, v22
	v_addc_co_u32_e64 v13, s[0:1], v23, v26, s[0:1]
	v_mul_f64 v[4:5], v[4:5], s[2:3]
	v_mul_f64 v[6:7], v[6:7], s[2:3]
	;; [unrolled: 1-line block ×4, first 2 shown]
	global_store_dwordx4 v[12:13], v[0:3], off
	s_nop 0
	v_add_co_u32_e64 v0, s[0:1], s4, v12
	v_addc_co_u32_e64 v1, s[0:1], v13, v26, s[0:1]
	global_store_dwordx4 v[0:1], v[4:7], off
	v_add_co_u32_e64 v0, s[0:1], s4, v0
	v_addc_co_u32_e64 v1, s[0:1], v1, v26, s[0:1]
	global_store_dwordx4 v[0:1], v[8:11], off
	s_and_b64 exec, exec, vcc
	s_cbranch_execz .LBB0_15
; %bb.14:
	global_load_dwordx4 v[2:5], v[104:105], off offset:1456
	ds_read_b128 v[6:9], v108 offset:1456
	ds_read_b128 v[10:13], v108 offset:3808
	v_mov_b32_e32 v18, s5
	s_waitcnt vmcnt(0) lgkmcnt(1)
	v_mul_f64 v[14:15], v[8:9], v[4:5]
	v_mul_f64 v[4:5], v[6:7], v[4:5]
	v_fma_f64 v[6:7], v[6:7], v[2:3], v[14:15]
	v_fma_f64 v[4:5], v[2:3], v[8:9], -v[4:5]
	v_mul_f64 v[2:3], v[6:7], s[2:3]
	v_mul_f64 v[4:5], v[4:5], s[2:3]
	v_mov_b32_e32 v6, 0xffff9770
	v_mad_u64_u32 v[6:7], s[0:1], s8, v6, v[0:1]
	s_mul_i32 s0, s9, 0xffff9770
	s_sub_i32 s0, s0, s8
	v_add_u32_e32 v7, s0, v7
	s_movk_i32 s0, 0x1000
	global_store_dwordx4 v[6:7], v[2:5], off
	global_load_dwordx4 v[0:3], v[104:105], off offset:3808
	s_waitcnt vmcnt(0) lgkmcnt(0)
	v_mul_f64 v[4:5], v[12:13], v[2:3]
	v_mul_f64 v[2:3], v[10:11], v[2:3]
	v_fma_f64 v[4:5], v[10:11], v[0:1], v[4:5]
	v_fma_f64 v[2:3], v[0:1], v[12:13], -v[2:3]
	v_mul_f64 v[0:1], v[4:5], s[2:3]
	v_mul_f64 v[2:3], v[2:3], s[2:3]
	v_add_co_u32_e32 v4, vcc, s0, v104
	v_addc_co_u32_e32 v5, vcc, 0, v105, vcc
	v_add_co_u32_e32 v12, vcc, s4, v6
	v_addc_co_u32_e32 v13, vcc, v7, v18, vcc
	global_store_dwordx4 v[12:13], v[0:3], off
	global_load_dwordx4 v[0:3], v[4:5], off offset:2064
	ds_read_b128 v[4:7], v108 offset:6160
	ds_read_b128 v[8:11], v108 offset:8512
	s_movk_i32 s0, 0x2000
	s_waitcnt vmcnt(0) lgkmcnt(1)
	v_mul_f64 v[14:15], v[6:7], v[2:3]
	v_mul_f64 v[2:3], v[4:5], v[2:3]
	v_fma_f64 v[4:5], v[4:5], v[0:1], v[14:15]
	v_fma_f64 v[2:3], v[0:1], v[6:7], -v[2:3]
	v_mul_f64 v[0:1], v[4:5], s[2:3]
	v_mul_f64 v[2:3], v[2:3], s[2:3]
	v_add_co_u32_e32 v4, vcc, s0, v104
	v_addc_co_u32_e32 v5, vcc, 0, v105, vcc
	v_add_co_u32_e32 v6, vcc, s4, v12
	v_addc_co_u32_e32 v7, vcc, v13, v18, vcc
	global_store_dwordx4 v[6:7], v[0:3], off
	global_load_dwordx4 v[0:3], v[4:5], off offset:320
	s_movk_i32 s0, 0x3000
	s_waitcnt vmcnt(0) lgkmcnt(0)
	v_mul_f64 v[12:13], v[10:11], v[2:3]
	v_mul_f64 v[2:3], v[8:9], v[2:3]
	v_fma_f64 v[8:9], v[8:9], v[0:1], v[12:13]
	v_fma_f64 v[2:3], v[0:1], v[10:11], -v[2:3]
	v_add_co_u32_e32 v12, vcc, s4, v6
	v_addc_co_u32_e32 v13, vcc, v7, v18, vcc
	v_mul_f64 v[0:1], v[8:9], s[2:3]
	v_mul_f64 v[2:3], v[2:3], s[2:3]
	global_store_dwordx4 v[12:13], v[0:3], off
	global_load_dwordx4 v[0:3], v[4:5], off offset:2672
	ds_read_b128 v[4:7], v108 offset:10864
	ds_read_b128 v[8:11], v108 offset:13216
	s_waitcnt vmcnt(0) lgkmcnt(1)
	v_mul_f64 v[14:15], v[6:7], v[2:3]
	v_mul_f64 v[2:3], v[4:5], v[2:3]
	v_fma_f64 v[4:5], v[4:5], v[0:1], v[14:15]
	v_fma_f64 v[2:3], v[0:1], v[6:7], -v[2:3]
	v_mul_f64 v[0:1], v[4:5], s[2:3]
	v_mul_f64 v[2:3], v[2:3], s[2:3]
	v_add_co_u32_e32 v4, vcc, s0, v104
	v_addc_co_u32_e32 v5, vcc, 0, v105, vcc
	v_add_co_u32_e32 v6, vcc, s4, v12
	v_addc_co_u32_e32 v7, vcc, v13, v18, vcc
	global_store_dwordx4 v[6:7], v[0:3], off
	global_load_dwordx4 v[0:3], v[4:5], off offset:928
	s_movk_i32 s0, 0x4000
	s_waitcnt vmcnt(0) lgkmcnt(0)
	v_mul_f64 v[12:13], v[10:11], v[2:3]
	v_mul_f64 v[2:3], v[8:9], v[2:3]
	v_fma_f64 v[8:9], v[8:9], v[0:1], v[12:13]
	v_fma_f64 v[2:3], v[0:1], v[10:11], -v[2:3]
	v_add_co_u32_e32 v12, vcc, s4, v6
	v_addc_co_u32_e32 v13, vcc, v7, v18, vcc
	v_mul_f64 v[0:1], v[8:9], s[2:3]
	v_mul_f64 v[2:3], v[2:3], s[2:3]
	global_store_dwordx4 v[12:13], v[0:3], off
	global_load_dwordx4 v[0:3], v[4:5], off offset:3280
	ds_read_b128 v[4:7], v108 offset:15568
	ds_read_b128 v[8:11], v108 offset:17920
	;; [unrolled: 27-line block ×3, first 2 shown]
	s_waitcnt vmcnt(0) lgkmcnt(1)
	v_mul_f64 v[14:15], v[6:7], v[2:3]
	v_mul_f64 v[2:3], v[4:5], v[2:3]
	v_fma_f64 v[4:5], v[4:5], v[0:1], v[14:15]
	v_fma_f64 v[2:3], v[0:1], v[6:7], -v[2:3]
	v_mul_f64 v[0:1], v[4:5], s[2:3]
	v_mul_f64 v[2:3], v[2:3], s[2:3]
	v_add_co_u32_e32 v4, vcc, s0, v104
	v_addc_co_u32_e32 v5, vcc, 0, v105, vcc
	v_add_co_u32_e32 v6, vcc, s4, v12
	v_addc_co_u32_e32 v7, vcc, v13, v18, vcc
	global_store_dwordx4 v[6:7], v[0:3], off
	global_load_dwordx4 v[0:3], v[4:5], off offset:2144
	s_movk_i32 s0, 0x6000
	v_add_co_u32_e32 v12, vcc, s0, v104
	v_addc_co_u32_e32 v13, vcc, 0, v105, vcc
	v_add_co_u32_e32 v14, vcc, s4, v6
	v_addc_co_u32_e32 v15, vcc, v7, v18, vcc
	s_movk_i32 s0, 0x7000
	s_waitcnt vmcnt(0) lgkmcnt(0)
	v_mul_f64 v[4:5], v[10:11], v[2:3]
	v_mul_f64 v[2:3], v[8:9], v[2:3]
	v_fma_f64 v[4:5], v[8:9], v[0:1], v[4:5]
	v_fma_f64 v[2:3], v[0:1], v[10:11], -v[2:3]
	v_mul_f64 v[0:1], v[4:5], s[2:3]
	v_mul_f64 v[2:3], v[2:3], s[2:3]
	global_store_dwordx4 v[14:15], v[0:3], off
	global_load_dwordx4 v[0:3], v[12:13], off offset:400
	ds_read_b128 v[4:7], v108 offset:24976
	ds_read_b128 v[8:11], v108 offset:27328
	s_waitcnt vmcnt(0) lgkmcnt(1)
	v_mul_f64 v[16:17], v[6:7], v[2:3]
	v_mul_f64 v[2:3], v[4:5], v[2:3]
	v_fma_f64 v[4:5], v[4:5], v[0:1], v[16:17]
	v_fma_f64 v[2:3], v[0:1], v[6:7], -v[2:3]
	v_mul_f64 v[0:1], v[4:5], s[2:3]
	v_mul_f64 v[2:3], v[2:3], s[2:3]
	v_add_co_u32_e32 v4, vcc, s4, v14
	v_addc_co_u32_e32 v5, vcc, v15, v18, vcc
	global_store_dwordx4 v[4:5], v[0:3], off
	global_load_dwordx4 v[0:3], v[12:13], off offset:2752
	s_waitcnt vmcnt(0) lgkmcnt(0)
	v_mul_f64 v[6:7], v[10:11], v[2:3]
	v_mul_f64 v[2:3], v[8:9], v[2:3]
	v_fma_f64 v[6:7], v[8:9], v[0:1], v[6:7]
	v_fma_f64 v[2:3], v[0:1], v[10:11], -v[2:3]
	v_mul_f64 v[0:1], v[6:7], s[2:3]
	v_mul_f64 v[2:3], v[2:3], s[2:3]
	v_add_co_u32_e32 v6, vcc, s0, v104
	v_addc_co_u32_e32 v7, vcc, 0, v105, vcc
	v_add_co_u32_e32 v8, vcc, s4, v4
	v_addc_co_u32_e32 v9, vcc, v5, v18, vcc
	global_store_dwordx4 v[8:9], v[0:3], off
	global_load_dwordx4 v[0:3], v[6:7], off offset:1008
	ds_read_b128 v[4:7], v108 offset:29680
	s_waitcnt vmcnt(0) lgkmcnt(0)
	v_mul_f64 v[10:11], v[6:7], v[2:3]
	v_mul_f64 v[2:3], v[4:5], v[2:3]
	v_fma_f64 v[4:5], v[4:5], v[0:1], v[10:11]
	v_fma_f64 v[2:3], v[0:1], v[6:7], -v[2:3]
	v_mul_f64 v[0:1], v[4:5], s[2:3]
	v_mul_f64 v[2:3], v[2:3], s[2:3]
	v_add_co_u32_e32 v4, vcc, s4, v8
	v_addc_co_u32_e32 v5, vcc, v9, v18, vcc
	global_store_dwordx4 v[4:5], v[0:3], off
.LBB0_15:
	s_endpgm
	.section	.rodata,"a",@progbits
	.p2align	6, 0x0
	.amdhsa_kernel bluestein_single_fwd_len1911_dim1_dp_op_CI_CI
		.amdhsa_group_segment_fixed_size 30576
		.amdhsa_private_segment_fixed_size 748
		.amdhsa_kernarg_size 104
		.amdhsa_user_sgpr_count 6
		.amdhsa_user_sgpr_private_segment_buffer 1
		.amdhsa_user_sgpr_dispatch_ptr 0
		.amdhsa_user_sgpr_queue_ptr 0
		.amdhsa_user_sgpr_kernarg_segment_ptr 1
		.amdhsa_user_sgpr_dispatch_id 0
		.amdhsa_user_sgpr_flat_scratch_init 0
		.amdhsa_user_sgpr_private_segment_size 0
		.amdhsa_uses_dynamic_stack 0
		.amdhsa_system_sgpr_private_segment_wavefront_offset 1
		.amdhsa_system_sgpr_workgroup_id_x 1
		.amdhsa_system_sgpr_workgroup_id_y 0
		.amdhsa_system_sgpr_workgroup_id_z 0
		.amdhsa_system_sgpr_workgroup_info 0
		.amdhsa_system_vgpr_workitem_id 0
		.amdhsa_next_free_vgpr 256
		.amdhsa_next_free_sgpr 56
		.amdhsa_reserve_vcc 1
		.amdhsa_reserve_flat_scratch 0
		.amdhsa_float_round_mode_32 0
		.amdhsa_float_round_mode_16_64 0
		.amdhsa_float_denorm_mode_32 3
		.amdhsa_float_denorm_mode_16_64 3
		.amdhsa_dx10_clamp 1
		.amdhsa_ieee_mode 1
		.amdhsa_fp16_overflow 0
		.amdhsa_exception_fp_ieee_invalid_op 0
		.amdhsa_exception_fp_denorm_src 0
		.amdhsa_exception_fp_ieee_div_zero 0
		.amdhsa_exception_fp_ieee_overflow 0
		.amdhsa_exception_fp_ieee_underflow 0
		.amdhsa_exception_fp_ieee_inexact 0
		.amdhsa_exception_int_div_zero 0
	.end_amdhsa_kernel
	.text
.Lfunc_end0:
	.size	bluestein_single_fwd_len1911_dim1_dp_op_CI_CI, .Lfunc_end0-bluestein_single_fwd_len1911_dim1_dp_op_CI_CI
                                        ; -- End function
	.section	.AMDGPU.csdata,"",@progbits
; Kernel info:
; codeLenInByte = 42336
; NumSgprs: 60
; NumVgprs: 256
; ScratchSize: 748
; MemoryBound: 0
; FloatMode: 240
; IeeeMode: 1
; LDSByteSize: 30576 bytes/workgroup (compile time only)
; SGPRBlocks: 7
; VGPRBlocks: 63
; NumSGPRsForWavesPerEU: 60
; NumVGPRsForWavesPerEU: 256
; Occupancy: 1
; WaveLimiterHint : 1
; COMPUTE_PGM_RSRC2:SCRATCH_EN: 1
; COMPUTE_PGM_RSRC2:USER_SGPR: 6
; COMPUTE_PGM_RSRC2:TRAP_HANDLER: 0
; COMPUTE_PGM_RSRC2:TGID_X_EN: 1
; COMPUTE_PGM_RSRC2:TGID_Y_EN: 0
; COMPUTE_PGM_RSRC2:TGID_Z_EN: 0
; COMPUTE_PGM_RSRC2:TIDIG_COMP_CNT: 0
	.type	__hip_cuid_3156c0dd015939de,@object ; @__hip_cuid_3156c0dd015939de
	.section	.bss,"aw",@nobits
	.globl	__hip_cuid_3156c0dd015939de
__hip_cuid_3156c0dd015939de:
	.byte	0                               ; 0x0
	.size	__hip_cuid_3156c0dd015939de, 1

	.ident	"AMD clang version 19.0.0git (https://github.com/RadeonOpenCompute/llvm-project roc-6.4.0 25133 c7fe45cf4b819c5991fe208aaa96edf142730f1d)"
	.section	".note.GNU-stack","",@progbits
	.addrsig
	.addrsig_sym __hip_cuid_3156c0dd015939de
	.amdgpu_metadata
---
amdhsa.kernels:
  - .args:
      - .actual_access:  read_only
        .address_space:  global
        .offset:         0
        .size:           8
        .value_kind:     global_buffer
      - .actual_access:  read_only
        .address_space:  global
        .offset:         8
        .size:           8
        .value_kind:     global_buffer
      - .actual_access:  read_only
        .address_space:  global
        .offset:         16
        .size:           8
        .value_kind:     global_buffer
      - .actual_access:  read_only
        .address_space:  global
        .offset:         24
        .size:           8
        .value_kind:     global_buffer
      - .actual_access:  read_only
        .address_space:  global
        .offset:         32
        .size:           8
        .value_kind:     global_buffer
      - .offset:         40
        .size:           8
        .value_kind:     by_value
      - .address_space:  global
        .offset:         48
        .size:           8
        .value_kind:     global_buffer
      - .address_space:  global
        .offset:         56
        .size:           8
        .value_kind:     global_buffer
      - .address_space:  global
        .offset:         64
        .size:           8
        .value_kind:     global_buffer
      - .address_space:  global
        .offset:         72
        .size:           8
        .value_kind:     global_buffer
      - .offset:         80
        .size:           4
        .value_kind:     by_value
      - .address_space:  global
        .offset:         88
        .size:           8
        .value_kind:     global_buffer
      - .address_space:  global
        .offset:         96
        .size:           8
        .value_kind:     global_buffer
    .group_segment_fixed_size: 30576
    .kernarg_segment_align: 8
    .kernarg_segment_size: 104
    .language:       OpenCL C
    .language_version:
      - 2
      - 0
    .max_flat_workgroup_size: 91
    .name:           bluestein_single_fwd_len1911_dim1_dp_op_CI_CI
    .private_segment_fixed_size: 748
    .sgpr_count:     60
    .sgpr_spill_count: 0
    .symbol:         bluestein_single_fwd_len1911_dim1_dp_op_CI_CI.kd
    .uniform_work_group_size: 1
    .uses_dynamic_stack: false
    .vgpr_count:     256
    .vgpr_spill_count: 233
    .wavefront_size: 64
amdhsa.target:   amdgcn-amd-amdhsa--gfx906
amdhsa.version:
  - 1
  - 2
...

	.end_amdgpu_metadata
